;; amdgpu-corpus repo=ROCm/rocFFT kind=compiled arch=gfx950 opt=O3
	.text
	.amdgcn_target "amdgcn-amd-amdhsa--gfx950"
	.amdhsa_code_object_version 6
	.protected	fft_rtc_fwd_len1890_factors_2_3_3_3_7_5_wgs_126_tpt_126_halfLds_dp_op_CI_CI_unitstride_sbrr_R2C_dirReg ; -- Begin function fft_rtc_fwd_len1890_factors_2_3_3_3_7_5_wgs_126_tpt_126_halfLds_dp_op_CI_CI_unitstride_sbrr_R2C_dirReg
	.globl	fft_rtc_fwd_len1890_factors_2_3_3_3_7_5_wgs_126_tpt_126_halfLds_dp_op_CI_CI_unitstride_sbrr_R2C_dirReg
	.p2align	8
	.type	fft_rtc_fwd_len1890_factors_2_3_3_3_7_5_wgs_126_tpt_126_halfLds_dp_op_CI_CI_unitstride_sbrr_R2C_dirReg,@function
fft_rtc_fwd_len1890_factors_2_3_3_3_7_5_wgs_126_tpt_126_halfLds_dp_op_CI_CI_unitstride_sbrr_R2C_dirReg: ; @fft_rtc_fwd_len1890_factors_2_3_3_3_7_5_wgs_126_tpt_126_halfLds_dp_op_CI_CI_unitstride_sbrr_R2C_dirReg
; %bb.0:
	s_load_dwordx4 s[4:7], s[0:1], 0x58
	s_load_dwordx4 s[8:11], s[0:1], 0x0
	;; [unrolled: 1-line block ×3, first 2 shown]
	v_mul_u32_u24_e32 v1, 0x209, v0
	v_add_u32_sdwa v6, s2, v1 dst_sel:DWORD dst_unused:UNUSED_PAD src0_sel:DWORD src1_sel:WORD_1
	v_mov_b32_e32 v4, 0
	s_waitcnt lgkmcnt(0)
	v_cmp_lt_u64_e64 s[2:3], s[10:11], 2
	v_mov_b32_e32 v7, v4
	s_and_b64 vcc, exec, s[2:3]
	v_mov_b64_e32 v[2:3], 0
	s_cbranch_vccnz .LBB0_8
; %bb.1:
	s_load_dwordx2 s[2:3], s[0:1], 0x10
	s_add_u32 s16, s14, 8
	s_addc_u32 s17, s15, 0
	s_add_u32 s18, s12, 8
	s_addc_u32 s19, s13, 0
	s_waitcnt lgkmcnt(0)
	s_add_u32 s20, s2, 8
	v_mov_b64_e32 v[2:3], 0
	s_addc_u32 s21, s3, 0
	s_mov_b64 s[22:23], 1
	v_mov_b64_e32 v[84:85], v[2:3]
.LBB0_2:                                ; =>This Inner Loop Header: Depth=1
	s_load_dwordx2 s[24:25], s[20:21], 0x0
                                        ; implicit-def: $vgpr88_vgpr89
	s_waitcnt lgkmcnt(0)
	v_or_b32_e32 v5, s25, v7
	v_cmp_ne_u64_e32 vcc, 0, v[4:5]
	s_and_saveexec_b64 s[2:3], vcc
	s_xor_b64 s[26:27], exec, s[2:3]
	s_cbranch_execz .LBB0_4
; %bb.3:                                ;   in Loop: Header=BB0_2 Depth=1
	v_cvt_f32_u32_e32 v1, s24
	v_cvt_f32_u32_e32 v5, s25
	s_sub_u32 s2, 0, s24
	s_subb_u32 s3, 0, s25
	v_fmac_f32_e32 v1, 0x4f800000, v5
	v_rcp_f32_e32 v1, v1
	s_nop 0
	v_mul_f32_e32 v1, 0x5f7ffffc, v1
	v_mul_f32_e32 v5, 0x2f800000, v1
	v_trunc_f32_e32 v5, v5
	v_fmac_f32_e32 v1, 0xcf800000, v5
	v_cvt_u32_f32_e32 v5, v5
	v_cvt_u32_f32_e32 v1, v1
	v_mul_lo_u32 v8, s2, v5
	v_mul_hi_u32 v10, s2, v1
	v_mul_lo_u32 v9, s3, v1
	v_add_u32_e32 v10, v10, v8
	v_mul_lo_u32 v12, s2, v1
	v_add_u32_e32 v13, v10, v9
	v_mul_hi_u32 v8, v1, v12
	v_mul_hi_u32 v11, v1, v13
	v_mul_lo_u32 v10, v1, v13
	v_mov_b32_e32 v9, v4
	v_lshl_add_u64 v[8:9], v[8:9], 0, v[10:11]
	v_mul_hi_u32 v11, v5, v12
	v_mul_lo_u32 v12, v5, v12
	v_add_co_u32_e32 v8, vcc, v8, v12
	v_mul_hi_u32 v10, v5, v13
	s_nop 0
	v_addc_co_u32_e32 v8, vcc, v9, v11, vcc
	v_mov_b32_e32 v9, v4
	s_nop 0
	v_addc_co_u32_e32 v11, vcc, 0, v10, vcc
	v_mul_lo_u32 v10, v5, v13
	v_lshl_add_u64 v[8:9], v[8:9], 0, v[10:11]
	v_add_co_u32_e32 v1, vcc, v1, v8
	v_mul_lo_u32 v10, s2, v1
	s_nop 0
	v_addc_co_u32_e32 v5, vcc, v5, v9, vcc
	v_mul_lo_u32 v8, s2, v5
	v_mul_hi_u32 v9, s2, v1
	v_add_u32_e32 v8, v9, v8
	v_mul_lo_u32 v9, s3, v1
	v_add_u32_e32 v12, v8, v9
	v_mul_hi_u32 v14, v5, v10
	v_mul_lo_u32 v15, v5, v10
	v_mul_hi_u32 v9, v1, v12
	v_mul_lo_u32 v8, v1, v12
	v_mul_hi_u32 v10, v1, v10
	v_mov_b32_e32 v11, v4
	v_lshl_add_u64 v[8:9], v[10:11], 0, v[8:9]
	v_add_co_u32_e32 v8, vcc, v8, v15
	v_mul_hi_u32 v13, v5, v12
	s_nop 0
	v_addc_co_u32_e32 v8, vcc, v9, v14, vcc
	v_mul_lo_u32 v10, v5, v12
	s_nop 0
	v_addc_co_u32_e32 v11, vcc, 0, v13, vcc
	v_mov_b32_e32 v9, v4
	v_lshl_add_u64 v[8:9], v[8:9], 0, v[10:11]
	v_add_co_u32_e32 v1, vcc, v1, v8
	v_mul_hi_u32 v10, v6, v1
	s_nop 0
	v_addc_co_u32_e32 v5, vcc, v5, v9, vcc
	v_mad_u64_u32 v[8:9], s[2:3], v6, v5, 0
	v_mov_b32_e32 v11, v4
	v_lshl_add_u64 v[8:9], v[10:11], 0, v[8:9]
	v_mad_u64_u32 v[12:13], s[2:3], v7, v1, 0
	v_add_co_u32_e32 v1, vcc, v8, v12
	v_mad_u64_u32 v[10:11], s[2:3], v7, v5, 0
	s_nop 0
	v_addc_co_u32_e32 v8, vcc, v9, v13, vcc
	v_mov_b32_e32 v9, v4
	s_nop 0
	v_addc_co_u32_e32 v11, vcc, 0, v11, vcc
	v_lshl_add_u64 v[8:9], v[8:9], 0, v[10:11]
	v_mul_lo_u32 v1, s25, v8
	v_mul_lo_u32 v5, s24, v9
	v_mad_u64_u32 v[10:11], s[2:3], s24, v8, 0
	v_add3_u32 v1, v11, v5, v1
	v_sub_u32_e32 v5, v7, v1
	v_mov_b32_e32 v11, s25
	v_sub_co_u32_e32 v14, vcc, v6, v10
	v_lshl_add_u64 v[12:13], v[8:9], 0, 1
	s_nop 0
	v_subb_co_u32_e64 v5, s[2:3], v5, v11, vcc
	v_subrev_co_u32_e64 v10, s[2:3], s24, v14
	v_subb_co_u32_e32 v1, vcc, v7, v1, vcc
	s_nop 0
	v_subbrev_co_u32_e64 v5, s[2:3], 0, v5, s[2:3]
	v_cmp_le_u32_e64 s[2:3], s25, v5
	v_cmp_le_u32_e32 vcc, s25, v1
	s_nop 0
	v_cndmask_b32_e64 v11, 0, -1, s[2:3]
	v_cmp_le_u32_e64 s[2:3], s24, v10
	s_nop 1
	v_cndmask_b32_e64 v10, 0, -1, s[2:3]
	v_cmp_eq_u32_e64 s[2:3], s25, v5
	s_nop 1
	v_cndmask_b32_e64 v5, v11, v10, s[2:3]
	v_lshl_add_u64 v[10:11], v[8:9], 0, 2
	v_cmp_ne_u32_e64 s[2:3], 0, v5
	s_nop 1
	v_cndmask_b32_e64 v5, v13, v11, s[2:3]
	v_cndmask_b32_e64 v11, 0, -1, vcc
	v_cmp_le_u32_e32 vcc, s24, v14
	s_nop 1
	v_cndmask_b32_e64 v13, 0, -1, vcc
	v_cmp_eq_u32_e32 vcc, s25, v1
	s_nop 1
	v_cndmask_b32_e32 v1, v11, v13, vcc
	v_cmp_ne_u32_e32 vcc, 0, v1
	v_cndmask_b32_e64 v1, v12, v10, s[2:3]
	s_nop 0
	v_cndmask_b32_e32 v89, v9, v5, vcc
	v_cndmask_b32_e32 v88, v8, v1, vcc
.LBB0_4:                                ;   in Loop: Header=BB0_2 Depth=1
	s_andn2_saveexec_b64 s[2:3], s[26:27]
	s_cbranch_execz .LBB0_6
; %bb.5:                                ;   in Loop: Header=BB0_2 Depth=1
	v_cvt_f32_u32_e32 v1, s24
	s_sub_i32 s26, 0, s24
	v_mov_b32_e32 v89, v4
	v_rcp_iflag_f32_e32 v1, v1
	s_nop 0
	v_mul_f32_e32 v1, 0x4f7ffffe, v1
	v_cvt_u32_f32_e32 v1, v1
	v_mul_lo_u32 v5, s26, v1
	v_mul_hi_u32 v5, v1, v5
	v_add_u32_e32 v1, v1, v5
	v_mul_hi_u32 v1, v6, v1
	v_mul_lo_u32 v5, v1, s24
	v_sub_u32_e32 v5, v6, v5
	v_add_u32_e32 v8, 1, v1
	v_subrev_u32_e32 v9, s24, v5
	v_cmp_le_u32_e32 vcc, s24, v5
	s_nop 1
	v_cndmask_b32_e32 v5, v5, v9, vcc
	v_cndmask_b32_e32 v1, v1, v8, vcc
	v_add_u32_e32 v8, 1, v1
	v_cmp_le_u32_e32 vcc, s24, v5
	s_nop 1
	v_cndmask_b32_e32 v88, v1, v8, vcc
.LBB0_6:                                ;   in Loop: Header=BB0_2 Depth=1
	s_or_b64 exec, exec, s[2:3]
	v_mad_u64_u32 v[8:9], s[2:3], v88, s24, 0
	s_load_dwordx2 s[2:3], s[18:19], 0x0
	v_mul_lo_u32 v1, v89, s24
	v_mul_lo_u32 v5, v88, s25
	s_load_dwordx2 s[24:25], s[16:17], 0x0
	s_add_u32 s22, s22, 1
	v_add3_u32 v1, v9, v5, v1
	v_sub_co_u32_e32 v5, vcc, v6, v8
	s_addc_u32 s23, s23, 0
	s_nop 0
	v_subb_co_u32_e32 v1, vcc, v7, v1, vcc
	s_add_u32 s16, s16, 8
	s_waitcnt lgkmcnt(0)
	v_mul_lo_u32 v6, s2, v1
	v_mul_lo_u32 v7, s3, v5
	v_mad_u64_u32 v[2:3], s[2:3], s2, v5, v[2:3]
	s_addc_u32 s17, s17, 0
	v_add3_u32 v3, v7, v3, v6
	v_mul_lo_u32 v1, s24, v1
	v_mul_lo_u32 v6, s25, v5
	v_mad_u64_u32 v[84:85], s[2:3], s24, v5, v[84:85]
	s_add_u32 s18, s18, 8
	v_add3_u32 v85, v6, v85, v1
	s_addc_u32 s19, s19, 0
	v_mov_b64_e32 v[6:7], s[10:11]
	s_add_u32 s20, s20, 8
	v_cmp_ge_u64_e32 vcc, s[22:23], v[6:7]
	s_addc_u32 s21, s21, 0
	s_cbranch_vccnz .LBB0_9
; %bb.7:                                ;   in Loop: Header=BB0_2 Depth=1
	v_mov_b64_e32 v[6:7], v[88:89]
	s_branch .LBB0_2
.LBB0_8:
	v_mov_b64_e32 v[84:85], v[2:3]
	v_mov_b64_e32 v[88:89], v[6:7]
.LBB0_9:
	s_load_dwordx2 s[18:19], s[0:1], 0x28
	s_lshl_b64 s[16:17], s[10:11], 3
	s_add_u32 s2, s14, s16
	s_addc_u32 s3, s15, s17
                                        ; implicit-def: $vgpr96_vgpr97
                                        ; implicit-def: $vgpr86
                                        ; implicit-def: $vgpr90
                                        ; implicit-def: $vgpr98
                                        ; implicit-def: $vgpr94
                                        ; implicit-def: $vgpr92
                                        ; implicit-def: $vgpr100
	s_waitcnt lgkmcnt(0)
	v_cmp_gt_u64_e64 s[0:1], s[18:19], v[88:89]
	v_cmp_le_u64_e32 vcc, s[18:19], v[88:89]
	s_and_saveexec_b64 s[10:11], vcc
	s_xor_b64 s[10:11], exec, s[10:11]
; %bb.10:
	s_mov_b32 s14, 0x2082083
	v_mul_hi_u32 v1, v0, s14
	v_mul_u32_u24_e32 v1, 0x7e, v1
	v_sub_u32_e32 v86, v0, v1
	v_add_u32_e32 v97, 0xfc, v86
	v_add_u32_e32 v90, 0x7e, v86
	v_add_u32_e32 v96, 0x17a, v86
	v_add_u32_e32 v98, 0x1f8, v86
	v_add_u32_e32 v94, 0x276, v86
	v_add_u32_e32 v92, 0x2f4, v86
	v_mov_b32_e32 v100, v97
                                        ; implicit-def: $vgpr0
                                        ; implicit-def: $vgpr2_vgpr3
; %bb.11:
	s_andn2_saveexec_b64 s[10:11], s[10:11]
	s_cbranch_execz .LBB0_13
; %bb.12:
	s_add_u32 s12, s12, s16
	s_addc_u32 s13, s13, s17
	s_load_dwordx2 s[12:13], s[12:13], 0x0
	s_mov_b32 s14, 0x2082083
	v_mov_b32_e32 v11, 0
	s_waitcnt lgkmcnt(0)
	v_mul_lo_u32 v1, s13, v88
	v_mul_lo_u32 v6, s12, v89
	v_mad_u64_u32 v[4:5], s[12:13], s12, v88, 0
	v_add3_u32 v5, v5, v6, v1
	v_mul_hi_u32 v1, v0, s14
	v_mul_u32_u24_e32 v1, 0x7e, v1
	v_sub_u32_e32 v86, v0, v1
	v_lshl_add_u64 v[0:1], v[4:5], 4, s[4:5]
	v_lshl_add_u64 v[8:9], v[2:3], 4, v[0:1]
	v_lshlrev_b32_e32 v10, 4, v86
	v_lshl_add_u64 v[40:41], v[8:9], 0, v[10:11]
	s_movk_i32 s4, 0x1000
	v_add_co_u32_e32 v24, vcc, s4, v40
	s_movk_i32 s5, 0x2000
	s_nop 0
	v_addc_co_u32_e32 v25, vcc, 0, v41, vcc
	v_add_co_u32_e32 v26, vcc, s5, v40
	s_movk_i32 s12, 0x3000
	s_nop 0
	v_addc_co_u32_e32 v27, vcc, 0, v41, vcc
	;; [unrolled: 4-line block ×3, first 2 shown]
	v_add_co_u32_e32 v60, vcc, s13, v40
	v_add_u32_e32 v97, 0xfc, v86
	s_nop 0
	v_addc_co_u32_e32 v61, vcc, 0, v41, vcc
	v_add_u32_e32 v96, 0x17a, v86
	v_add_u32_e32 v66, 0, v10
	v_mov_b32_e32 v10, v97
	v_add_co_u32_e32 v62, vcc, 0x5000, v40
	v_lshl_add_u64 v[42:43], v[10:11], 4, v[8:9]
	v_mov_b32_e32 v10, v96
	v_addc_co_u32_e32 v63, vcc, 0, v41, vcc
	v_lshl_add_u64 v[46:47], v[10:11], 4, v[8:9]
	v_add_co_u32_e32 v64, vcc, 0x6000, v40
	global_load_dwordx4 v[0:3], v[40:41], off
	global_load_dwordx4 v[4:7], v[40:41], off offset:2016
	global_load_dwordx4 v[8:11], v[24:25], off offset:3968
	;; [unrolled: 1-line block ×5, first 2 shown]
	s_nop 0
	global_load_dwordx4 v[24:27], v[42:43], off
	global_load_dwordx4 v[28:31], v[46:47], off
	global_load_dwordx4 v[32:35], v[44:45], off offset:3840
	global_load_dwordx4 v[36:39], v[60:61], off offset:1760
	v_addc_co_u32_e32 v65, vcc, 0, v41, vcc
	global_load_dwordx4 v[40:43], v[60:61], off offset:3776
	global_load_dwordx4 v[44:47], v[62:63], off offset:1696
	global_load_dwordx4 v[48:51], v[62:63], off offset:3712
	global_load_dwordx4 v[52:55], v[64:65], off offset:1632
	global_load_dwordx4 v[56:59], v[64:65], off offset:3648
	v_add_u32_e32 v90, 0x7e, v86
	v_add_u32_e32 v98, 0x1f8, v86
	;; [unrolled: 1-line block ×4, first 2 shown]
	v_mov_b32_e32 v100, v97
	v_lshl_add_u32 v60, v97, 4, 0
	v_lshl_add_u32 v61, v96, 4, 0
	s_waitcnt vmcnt(14)
	ds_write_b128 v66, v[0:3]
	s_waitcnt vmcnt(13)
	ds_write_b128 v66, v[4:7] offset:2016
	s_waitcnt vmcnt(8)
	ds_write_b128 v60, v[24:27]
	ds_write_b128 v66, v[12:15] offset:10080
	ds_write_b128 v66, v[16:19] offset:12096
	;; [unrolled: 1-line block ×3, first 2 shown]
	s_waitcnt vmcnt(6)
	ds_write_b128 v66, v[32:35] offset:16128
	ds_write_b128 v61, v[28:31]
	ds_write_b128 v66, v[8:11] offset:8064
	s_waitcnt vmcnt(5)
	ds_write_b128 v66, v[36:39] offset:18144
	s_waitcnt vmcnt(4)
	;; [unrolled: 2-line block ×6, first 2 shown]
	ds_write_b128 v66, v[56:59] offset:28224
.LBB0_13:
	s_or_b64 exec, exec, s[10:11]
	v_lshlrev_b32_e32 v87, 4, v86
	v_add_u32_e32 v102, 0, v87
	s_load_dwordx2 s[4:5], s[2:3], 0x0
	s_waitcnt lgkmcnt(0)
	s_barrier
	ds_read_b128 v[0:3], v102
	ds_read_b128 v[4:7], v102 offset:2016
	ds_read_b128 v[8:11], v102 offset:15120
	;; [unrolled: 1-line block ×8, first 2 shown]
	s_waitcnt lgkmcnt(6)
	v_add_f64 v[36:37], v[0:1], -v[8:9]
	v_add_f64 v[38:39], v[2:3], -v[10:11]
	v_fma_f64 v[40:41], v[0:1], 2.0, -v[36:37]
	v_fma_f64 v[42:43], v[2:3], 2.0, -v[38:39]
	s_waitcnt lgkmcnt(5)
	v_add_f64 v[10:11], v[4:5], -v[12:13]
	v_add_f64 v[12:13], v[6:7], -v[14:15]
	ds_read_b128 v[0:3], v102 offset:8064
	v_fma_f64 v[44:45], v[4:5], 2.0, -v[10:11]
	v_fma_f64 v[46:47], v[6:7], 2.0, -v[12:13]
	ds_read_b128 v[4:7], v102 offset:10080
	ds_read_b128 v[48:51], v102 offset:25200
	s_waitcnt lgkmcnt(5)
	v_add_f64 v[24:25], v[16:17], -v[24:25]
	s_waitcnt lgkmcnt(2)
	v_add_f64 v[32:33], v[0:1], -v[32:33]
	v_add_f64 v[34:35], v[2:3], -v[34:35]
	v_fma_f64 v[52:53], v[0:1], 2.0, -v[32:33]
	v_fma_f64 v[54:55], v[2:3], 2.0, -v[34:35]
	s_waitcnt lgkmcnt(0)
	v_add_f64 v[48:49], v[4:5], -v[48:49]
	v_add_f64 v[50:51], v[6:7], -v[50:51]
	ds_read_b128 v[0:3], v102 offset:27216
	ds_read_b128 v[56:59], v102 offset:12096
	v_fma_f64 v[60:61], v[4:5], 2.0, -v[48:49]
	v_fma_f64 v[62:63], v[6:7], 2.0, -v[50:51]
	ds_read_b128 v[4:7], v102 offset:14112
	ds_read_b128 v[64:67], v102 offset:29232
	v_add_f64 v[26:27], v[18:19], -v[26:27]
	v_add_f64 v[28:29], v[20:21], -v[28:29]
	v_add_f64 v[30:31], v[22:23], -v[30:31]
	s_waitcnt lgkmcnt(2)
	v_add_f64 v[68:69], v[56:57], -v[0:1]
	v_add_f64 v[70:71], v[58:59], -v[2:3]
	v_fma_f64 v[14:15], v[16:17], 2.0, -v[24:25]
	v_fma_f64 v[16:17], v[18:19], 2.0, -v[26:27]
	;; [unrolled: 1-line block ×6, first 2 shown]
	s_waitcnt lgkmcnt(0)
	v_add_f64 v[0:1], v[4:5], -v[64:65]
	v_add_f64 v[2:3], v[6:7], -v[66:67]
	v_add_u32_e32 v8, v102, v87
	v_lshl_add_u32 v99, v90, 5, 0
	v_lshl_add_u32 v104, v100, 5, 0
	;; [unrolled: 1-line block ×6, first 2 shown]
	v_cmp_gt_u32_e32 vcc, 63, v86
	s_barrier
	ds_write_b128 v8, v[40:43]
	ds_write_b128 v8, v[36:39] offset:16
	ds_write_b128 v99, v[44:47]
	ds_write_b128 v99, v[10:13] offset:16
	;; [unrolled: 2-line block ×7, first 2 shown]
	s_and_saveexec_b64 s[2:3], vcc
	s_cbranch_execz .LBB0_15
; %bb.14:
	v_fma_f64 v[6:7], v[6:7], 2.0, -v[2:3]
	v_fma_f64 v[4:5], v[4:5], 2.0, -v[0:1]
	ds_write_b128 v8, v[4:7] offset:28224
	ds_write_b128 v8, v[0:3] offset:28240
.LBB0_15:
	s_or_b64 exec, exec, s[2:3]
	v_and_b32_e32 v57, 1, v86
	v_lshlrev_b32_e32 v12, 5, v57
	s_waitcnt lgkmcnt(0)
	s_barrier
	global_load_dwordx4 v[8:11], v12, s[8:9]
	global_load_dwordx4 v[4:7], v12, s[8:9] offset:16
	v_lshlrev_b32_e32 v91, 4, v94
	ds_read_b128 v[16:19], v102 offset:22176
	ds_read_b128 v[12:15], v102 offset:24192
	;; [unrolled: 1-line block ×9, first 2 shown]
	ds_read_b128 v[36:39], v102
	v_lshrrev_b32_e32 v40, 1, v86
	v_lshlrev_b32_e32 v105, 4, v90
	v_lshlrev_b32_e32 v108, 4, v100
	;; [unrolled: 1-line block ×4, first 2 shown]
	v_sub_u32_e32 v43, v103, v91
	v_mul_u32_u24_e32 v78, 6, v40
	v_sub_u32_e32 v56, v99, v105
	v_sub_u32_e32 v40, v104, v108
	;; [unrolled: 1-line block ×4, first 2 shown]
	ds_read_b128 v[58:61], v43
	ds_read_b128 v[62:65], v56
	;; [unrolled: 1-line block ×5, first 2 shown]
	v_or_b32_e32 v78, v78, v57
	v_lshl_add_u32 v107, v78, 4, 0
	s_waitcnt lgkmcnt(0)
	s_barrier
	s_mov_b32 s2, 0xe8584caa
	s_mov_b32 s3, 0x3febb67a
	;; [unrolled: 1-line block ×4, first 2 shown]
	s_movk_i32 s12, 0xab
	s_mov_b32 s13, 0x5040100
	s_waitcnt vmcnt(1)
	v_mul_f64 v[78:79], v[60:61], v[10:11]
	v_mul_f64 v[80:81], v[58:59], v[10:11]
	;; [unrolled: 1-line block ×10, first 2 shown]
	s_waitcnt vmcnt(0)
	v_mul_f64 v[10:11], v[22:23], v[6:7]
	v_mul_f64 v[124:125], v[20:21], v[6:7]
	v_mul_f64 v[126:127], v[18:19], v[6:7]
	v_mul_f64 v[128:129], v[16:17], v[6:7]
	v_mul_f64 v[130:131], v[14:15], v[6:7]
	v_mul_f64 v[132:133], v[12:13], v[6:7]
	v_mul_f64 v[134:135], v[46:47], v[6:7]
	v_mul_f64 v[136:137], v[44:45], v[6:7]
	v_mul_f64 v[138:139], v[50:51], v[6:7]
	v_mul_f64 v[140:141], v[48:49], v[6:7]
	v_fma_f64 v[58:59], v[58:59], v[8:9], -v[78:79]
	v_fmac_f64_e32 v[80:81], v[60:61], v[8:9]
	v_fma_f64 v[52:53], v[52:53], v[8:9], -v[82:83]
	v_fmac_f64_e32 v[110:111], v[54:55], v[8:9]
	;; [unrolled: 2-line block ×10, first 2 shown]
	v_add_f64 v[4:5], v[36:37], v[58:59]
	v_add_f64 v[6:7], v[38:39], v[80:81]
	;; [unrolled: 1-line block ×4, first 2 shown]
	ds_write_b128 v107, v[4:7]
	v_add_f64 v[4:5], v[80:81], v[124:125]
	v_add_f64 v[12:13], v[58:59], v[8:9]
	v_fmac_f64_e32 v[38:39], -0.5, v[4:5]
	v_add_f64 v[8:9], v[58:59], -v[8:9]
	v_add_f64 v[14:15], v[80:81], -v[124:125]
	v_fmac_f64_e32 v[36:37], -0.5, v[12:13]
	v_fma_f64 v[6:7], s[10:11], v[8:9], v[38:39]
	v_fmac_f64_e32 v[38:39], s[2:3], v[8:9]
	v_lshrrev_b32_e32 v8, 1, v90
	v_fma_f64 v[4:5], s[2:3], v[14:15], v[36:37]
	v_mul_lo_u32 v8, v8, 6
	ds_write_b128 v107, v[4:7] offset:32
	v_fmac_f64_e32 v[36:37], s[10:11], v[14:15]
	v_add_f64 v[4:5], v[62:63], v[52:53]
	v_add_f64 v[6:7], v[64:65], v[110:111]
	v_or_b32_e32 v8, v8, v57
	ds_write_b128 v107, v[36:39] offset:64
	v_add_f64 v[4:5], v[4:5], v[10:11]
	v_add_f64 v[6:7], v[6:7], v[128:129]
	v_lshl_add_u32 v36, v8, 4, 0
	ds_write_b128 v36, v[4:7]
	v_add_f64 v[4:5], v[52:53], v[10:11]
	v_fmac_f64_e32 v[62:63], -0.5, v[4:5]
	v_add_f64 v[6:7], v[110:111], -v[128:129]
	v_fma_f64 v[4:5], s[2:3], v[6:7], v[62:63]
	v_fmac_f64_e32 v[62:63], s[10:11], v[6:7]
	v_add_f64 v[6:7], v[110:111], v[128:129]
	v_fmac_f64_e32 v[64:65], -0.5, v[6:7]
	v_add_f64 v[8:9], v[52:53], -v[10:11]
	v_fma_f64 v[6:7], s[10:11], v[8:9], v[64:65]
	v_fmac_f64_e32 v[64:65], s[2:3], v[8:9]
	v_add_f64 v[8:9], v[28:29], v[16:17]
	v_add_f64 v[10:11], v[66:67], v[28:29]
	v_fmac_f64_e32 v[66:67], -0.5, v[8:9]
	v_add_f64 v[12:13], v[114:115], -v[132:133]
	ds_write_b128 v36, v[4:7] offset:32
	ds_write_b128 v36, v[62:65] offset:64
	v_lshrrev_b32_e32 v4, 1, v100
	v_fma_f64 v[8:9], s[2:3], v[12:13], v[66:67]
	v_fmac_f64_e32 v[66:67], s[10:11], v[12:13]
	v_add_f64 v[12:13], v[10:11], v[16:17]
	v_add_f64 v[10:11], v[68:69], v[114:115]
	v_mul_lo_u32 v4, v4, 6
	v_add_f64 v[14:15], v[10:11], v[132:133]
	v_add_f64 v[10:11], v[114:115], v[132:133]
	v_or_b32_e32 v4, v4, v57
	v_fmac_f64_e32 v[68:69], -0.5, v[10:11]
	v_add_f64 v[16:17], v[28:29], -v[16:17]
	v_lshl_add_u32 v4, v4, 4, 0
	v_fma_f64 v[10:11], s[10:11], v[16:17], v[68:69]
	v_fmac_f64_e32 v[68:69], s[2:3], v[16:17]
	v_add_f64 v[16:17], v[24:25], v[18:19]
	ds_write_b128 v4, v[12:15]
	ds_write_b128 v4, v[8:11] offset:32
	ds_write_b128 v4, v[66:69] offset:64
	v_lshrrev_b32_e32 v4, 1, v96
	v_add_f64 v[20:21], v[70:71], v[24:25]
	v_fmac_f64_e32 v[70:71], -0.5, v[16:17]
	v_add_f64 v[22:23], v[118:119], -v[136:137]
	v_mul_lo_u32 v4, v4, 6
	v_fma_f64 v[16:17], s[2:3], v[22:23], v[70:71]
	v_fmac_f64_e32 v[70:71], s[10:11], v[22:23]
	v_add_f64 v[22:23], v[72:73], v[118:119]
	v_add_f64 v[28:29], v[118:119], v[136:137]
	v_or_b32_e32 v4, v4, v57
	v_add_f64 v[20:21], v[20:21], v[18:19]
	v_add_f64 v[22:23], v[22:23], v[136:137]
	v_fmac_f64_e32 v[72:73], -0.5, v[28:29]
	v_add_f64 v[24:25], v[24:25], -v[18:19]
	v_lshl_add_u32 v4, v4, 4, 0
	v_fma_f64 v[18:19], s[10:11], v[24:25], v[72:73]
	v_fmac_f64_e32 v[72:73], s[2:3], v[24:25]
	v_add_f64 v[24:25], v[26:27], v[32:33]
	ds_write_b128 v4, v[20:23]
	ds_write_b128 v4, v[16:19] offset:32
	ds_write_b128 v4, v[70:73] offset:64
	v_lshrrev_b32_e32 v4, 1, v98
	v_add_f64 v[28:29], v[74:75], v[26:27]
	v_fmac_f64_e32 v[74:75], -0.5, v[24:25]
	v_add_f64 v[30:31], v[122:123], -v[140:141]
	v_mul_lo_u32 v4, v4, 6
	v_fma_f64 v[24:25], s[2:3], v[30:31], v[74:75]
	v_fmac_f64_e32 v[74:75], s[10:11], v[30:31]
	v_add_f64 v[30:31], v[76:77], v[122:123]
	v_add_f64 v[34:35], v[122:123], v[140:141]
	v_or_b32_e32 v4, v4, v57
	v_add_f64 v[28:29], v[28:29], v[32:33]
	v_add_f64 v[30:31], v[30:31], v[140:141]
	v_fmac_f64_e32 v[76:77], -0.5, v[34:35]
	v_add_f64 v[32:33], v[26:27], -v[32:33]
	v_lshl_add_u32 v4, v4, 4, 0
	v_fma_f64 v[26:27], s[10:11], v[32:33], v[76:77]
	v_fmac_f64_e32 v[76:77], s[2:3], v[32:33]
	ds_write_b128 v4, v[28:31]
	ds_write_b128 v4, v[24:27] offset:32
	ds_write_b128 v4, v[74:77] offset:64
	v_mul_lo_u16_sdwa v4, v86, s12 dst_sel:DWORD dst_unused:UNUSED_PAD src0_sel:BYTE_0 src1_sel:DWORD
	v_lshrrev_b16_e32 v25, 10, v4
	v_mul_lo_u16_e32 v4, 6, v25
	v_sub_u16_e32 v57, v86, v4
	v_mov_b32_e32 v24, 5
	v_lshlrev_b32_sdwa v4, v24, v57 dst_sel:DWORD dst_unused:UNUSED_PAD src0_sel:DWORD src1_sel:BYTE_0
	s_waitcnt lgkmcnt(0)
	s_barrier
	global_load_dwordx4 v[8:11], v4, s[8:9] offset:64
	global_load_dwordx4 v[12:15], v4, s[8:9] offset:80
	v_mul_lo_u16_sdwa v4, v90, s12 dst_sel:DWORD dst_unused:UNUSED_PAD src0_sel:BYTE_0 src1_sel:DWORD
	v_lshrrev_b16_e32 v109, 10, v4
	v_mul_lo_u16_e32 v4, 6, v109
	v_sub_u16_e32 v116, v90, v4
	v_lshlrev_b32_sdwa v4, v24, v116 dst_sel:DWORD dst_unused:UNUSED_PAD src0_sel:DWORD src1_sel:BYTE_0
	s_mov_b32 s12, 0xaaab
	global_load_dwordx4 v[16:19], v4, s[8:9] offset:64
	global_load_dwordx4 v[20:23], v4, s[8:9] offset:80
	v_mul_u32_u24_sdwa v4, v97, s12 dst_sel:DWORD dst_unused:UNUSED_PAD src0_sel:WORD_0 src1_sel:DWORD
	v_lshrrev_b32_e32 v117, 18, v4
	v_mul_lo_u16_e32 v4, 6, v117
	v_sub_u16_e32 v118, v97, v4
	v_lshlrev_b32_e32 v4, 5, v118
	global_load_dwordx4 v[26:29], v4, s[8:9] offset:64
	global_load_dwordx4 v[30:33], v4, s[8:9] offset:80
	v_mul_u32_u24_sdwa v4, v96, s12 dst_sel:DWORD dst_unused:UNUSED_PAD src0_sel:WORD_0 src1_sel:DWORD
	v_lshrrev_b32_e32 v119, 18, v4
	v_mul_lo_u16_e32 v4, 6, v119
	v_sub_u16_e32 v120, v96, v4
	v_lshlrev_b32_e32 v4, 5, v120
	;; [unrolled: 7-line block ×3, first 2 shown]
	global_load_dwordx4 v[48:51], v4, s[8:9] offset:64
	global_load_dwordx4 v[52:55], v4, s[8:9] offset:80
	ds_read_b128 v[58:61], v43
	ds_read_b128 v[4:7], v56
	ds_read_b128 v[62:65], v102 offset:20160
	v_mov_b32_e32 v107, 4
	v_mul_u32_u24_e32 v25, 0x120, v25
	s_movk_i32 s12, 0x120
	s_waitcnt vmcnt(9) lgkmcnt(2)
	v_mul_f64 v[38:39], v[60:61], v[10:11]
	v_mul_f64 v[70:71], v[58:59], v[10:11]
	v_fma_f64 v[38:39], v[58:59], v[8:9], -v[38:39]
	v_fmac_f64_e32 v[70:71], v[60:61], v[8:9]
	ds_read_b128 v[58:61], v102 offset:18144
	ds_read_b128 v[8:11], v102 offset:12096
	s_waitcnt vmcnt(8) lgkmcnt(2)
	v_mul_f64 v[66:67], v[64:65], v[14:15]
	v_mul_f64 v[74:75], v[62:63], v[14:15]
	v_fma_f64 v[72:73], v[62:63], v[12:13], -v[66:67]
	v_fmac_f64_e32 v[74:75], v[64:65], v[12:13]
	ds_read_b128 v[62:65], v102
	s_waitcnt vmcnt(7) lgkmcnt(1)
	v_mul_f64 v[66:67], v[10:11], v[18:19]
	ds_read_b128 v[12:15], v102 offset:22176
	v_mul_f64 v[78:79], v[8:9], v[18:19]
	v_fma_f64 v[76:77], v[8:9], v[16:17], -v[66:67]
	v_fmac_f64_e32 v[78:79], v[10:11], v[16:17]
	ds_read_b128 v[8:11], v102 offset:24192
	ds_read_b128 v[16:19], v102 offset:14112
	s_waitcnt vmcnt(6) lgkmcnt(2)
	v_mul_f64 v[66:67], v[14:15], v[22:23]
	v_fma_f64 v[80:81], v[12:13], v[20:21], -v[66:67]
	ds_read_b128 v[66:69], v102 offset:16128
	v_mul_f64 v[82:83], v[12:13], v[22:23]
	s_waitcnt vmcnt(5) lgkmcnt(1)
	v_mul_f64 v[12:13], v[18:19], v[28:29]
	v_fmac_f64_e32 v[82:83], v[14:15], v[20:21]
	v_fma_f64 v[20:21], v[16:17], v[26:27], -v[12:13]
	s_waitcnt vmcnt(4)
	v_mul_f64 v[12:13], v[10:11], v[32:33]
	v_mul_f64 v[114:115], v[8:9], v[32:33]
	;; [unrolled: 1-line block ×3, first 2 shown]
	v_fma_f64 v[112:113], v[8:9], v[30:31], -v[12:13]
	v_fmac_f64_e32 v[114:115], v[10:11], v[30:31]
	ds_read_b128 v[8:11], v102 offset:26208
	v_fmac_f64_e32 v[110:111], v[18:19], v[26:27]
	ds_read_b128 v[26:29], v102 offset:28224
	s_waitcnt vmcnt(3) lgkmcnt(2)
	v_mul_f64 v[12:13], v[68:69], v[36:37]
	v_fma_f64 v[14:15], v[66:67], v[34:35], -v[12:13]
	s_waitcnt vmcnt(2) lgkmcnt(1)
	v_mul_f64 v[12:13], v[10:11], v[46:47]
	v_fma_f64 v[22:23], v[8:9], v[44:45], -v[12:13]
	s_waitcnt vmcnt(0) lgkmcnt(0)
	v_mul_f64 v[12:13], v[28:29], v[54:55]
	v_mul_f64 v[16:17], v[26:27], v[54:55]
	v_fma_f64 v[12:13], v[26:27], v[52:53], -v[12:13]
	v_fmac_f64_e32 v[16:17], v[28:29], v[52:53]
	v_add_f64 v[26:27], v[62:63], v[38:39]
	v_add_f64 v[28:29], v[64:65], v[70:71]
	v_lshlrev_b32_sdwa v30, v107, v57 dst_sel:DWORD dst_unused:UNUSED_PAD src0_sel:DWORD src1_sel:BYTE_0
	v_mul_f64 v[18:19], v[66:67], v[36:37]
	v_mul_f64 v[66:67], v[8:9], v[46:47]
	v_add_f64 v[26:27], v[26:27], v[72:73]
	v_add_f64 v[28:29], v[28:29], v[74:75]
	v_add3_u32 v25, 0, v25, v30
	v_fmac_f64_e32 v[18:19], v[68:69], v[34:35]
	v_fmac_f64_e32 v[66:67], v[10:11], v[44:45]
	ds_read_b128 v[30:33], v40
	ds_read_b128 v[34:37], v41
	;; [unrolled: 1-line block ×3, first 2 shown]
	s_waitcnt lgkmcnt(0)
	s_barrier
	ds_write_b128 v25, v[26:29]
	v_add_f64 v[26:27], v[38:39], v[72:73]
	v_mul_f64 v[8:9], v[60:61], v[50:51]
	v_mul_f64 v[10:11], v[58:59], v[50:51]
	v_fmac_f64_e32 v[62:63], -0.5, v[26:27]
	v_add_f64 v[26:27], v[70:71], v[74:75]
	v_fma_f64 v[8:9], v[58:59], v[48:49], -v[8:9]
	v_fmac_f64_e32 v[10:11], v[60:61], v[48:49]
	v_add_f64 v[48:49], v[70:71], -v[74:75]
	v_fmac_f64_e32 v[64:65], -0.5, v[26:27]
	v_add_f64 v[38:39], v[38:39], -v[72:73]
	v_fma_f64 v[26:27], s[2:3], v[48:49], v[62:63]
	v_fma_f64 v[28:29], s[10:11], v[38:39], v[64:65]
	v_fmac_f64_e32 v[62:63], s[10:11], v[48:49]
	v_fmac_f64_e32 v[64:65], s[2:3], v[38:39]
	ds_write_b128 v25, v[26:29] offset:96
	ds_write_b128 v25, v[62:65] offset:192
	v_add_f64 v[26:27], v[4:5], v[76:77]
	v_add_f64 v[28:29], v[6:7], v[78:79]
	v_mul_u32_u24_e32 v25, 0x120, v109
	v_lshlrev_b32_sdwa v38, v107, v116 dst_sel:DWORD dst_unused:UNUSED_PAD src0_sel:DWORD src1_sel:BYTE_0
	v_add_f64 v[26:27], v[26:27], v[80:81]
	v_add_f64 v[28:29], v[28:29], v[82:83]
	v_add3_u32 v25, 0, v25, v38
	ds_write_b128 v25, v[26:29]
	v_add_f64 v[26:27], v[76:77], v[80:81]
	v_fmac_f64_e32 v[4:5], -0.5, v[26:27]
	v_add_f64 v[26:27], v[78:79], v[82:83]
	v_add_f64 v[38:39], v[78:79], -v[82:83]
	v_fmac_f64_e32 v[6:7], -0.5, v[26:27]
	v_add_f64 v[48:49], v[76:77], -v[80:81]
	v_fma_f64 v[26:27], s[2:3], v[38:39], v[4:5]
	v_fma_f64 v[28:29], s[10:11], v[48:49], v[6:7]
	v_fmac_f64_e32 v[4:5], s[10:11], v[38:39]
	v_fmac_f64_e32 v[6:7], s[2:3], v[48:49]
	ds_write_b128 v25, v[4:7] offset:192
	v_add_f64 v[4:5], v[20:21], v[112:113]
	ds_write_b128 v25, v[26:29] offset:96
	v_add_f64 v[6:7], v[30:31], v[20:21]
	v_fmac_f64_e32 v[30:31], -0.5, v[4:5]
	v_add_f64 v[26:27], v[110:111], -v[114:115]
	v_fma_f64 v[4:5], s[2:3], v[26:27], v[30:31]
	v_fmac_f64_e32 v[30:31], s[10:11], v[26:27]
	v_add_f64 v[26:27], v[6:7], v[112:113]
	v_add_f64 v[6:7], v[32:33], v[110:111]
	;; [unrolled: 1-line block ×4, first 2 shown]
	v_fmac_f64_e32 v[32:33], -0.5, v[6:7]
	v_add_f64 v[20:21], v[20:21], -v[112:113]
	v_fma_f64 v[6:7], s[10:11], v[20:21], v[32:33]
	v_fmac_f64_e32 v[32:33], s[2:3], v[20:21]
	v_add_f64 v[20:21], v[14:15], v[22:23]
	v_add_f64 v[38:39], v[34:35], v[14:15]
	v_fmac_f64_e32 v[34:35], -0.5, v[20:21]
	v_add_f64 v[48:49], v[18:19], -v[66:67]
	v_fma_f64 v[20:21], s[2:3], v[48:49], v[34:35]
	v_fmac_f64_e32 v[34:35], s[10:11], v[48:49]
	v_add_f64 v[48:49], v[38:39], v[22:23]
	v_add_f64 v[38:39], v[36:37], v[18:19]
	;; [unrolled: 1-line block ×3, first 2 shown]
	v_fmac_f64_e32 v[36:37], -0.5, v[18:19]
	v_add_f64 v[18:19], v[44:45], v[8:9]
	v_add_f64 v[50:51], v[38:39], v[66:67]
	v_add_f64 v[14:15], v[14:15], -v[22:23]
	v_add_f64 v[38:39], v[10:11], -v[16:17]
	v_add_f64 v[52:53], v[18:19], v[12:13]
	v_add_f64 v[18:19], v[46:47], v[10:11]
	;; [unrolled: 1-line block ×3, first 2 shown]
	v_fma_f64 v[22:23], s[10:11], v[14:15], v[36:37]
	v_fmac_f64_e32 v[36:37], s[2:3], v[14:15]
	v_add_f64 v[14:15], v[8:9], v[12:13]
	v_fmac_f64_e32 v[46:47], -0.5, v[10:11]
	v_add_f64 v[8:9], v[8:9], -v[12:13]
	v_add_f64 v[54:55], v[18:19], v[16:17]
	v_fma_f64 v[16:17], s[10:11], v[8:9], v[46:47]
	v_fmac_f64_e32 v[46:47], s[2:3], v[8:9]
	v_perm_b32 v8, v117, v119, s13
	v_pk_mul_lo_u16 v8, v8, s12 op_sel_hi:[1,0]
	v_lshlrev_b32_e32 v10, 4, v118
	v_lshrrev_b32_e32 v9, 16, v8
	v_add3_u32 v9, 0, v9, v10
	ds_write_b128 v9, v[26:29]
	ds_write_b128 v9, v[4:7] offset:96
	ds_write_b128 v9, v[30:33] offset:192
	v_and_b32_e32 v4, 0xffe0, v8
	v_lshlrev_b32_e32 v5, 4, v120
	v_add3_u32 v4, 0, v4, v5
	ds_write_b128 v4, v[48:51]
	ds_write_b128 v4, v[20:23] offset:96
	ds_write_b128 v4, v[34:37] offset:192
	v_mul_u32_u24_e32 v4, 0x120, v121
	v_lshlrev_b32_e32 v5, 4, v122
	v_fmac_f64_e32 v[44:45], -0.5, v[14:15]
	v_add3_u32 v4, 0, v4, v5
	v_mov_b32_e32 v8, 57
	v_fma_f64 v[14:15], s[2:3], v[38:39], v[44:45]
	v_fmac_f64_e32 v[44:45], s[10:11], v[38:39]
	ds_write_b128 v4, v[52:55]
	ds_write_b128 v4, v[14:17] offset:96
	ds_write_b128 v4, v[44:47] offset:192
	v_mul_lo_u16_sdwa v4, v86, v8 dst_sel:DWORD dst_unused:UNUSED_PAD src0_sel:BYTE_0 src1_sel:DWORD
	v_lshrrev_b16_e32 v57, 10, v4
	v_mul_lo_u16_e32 v4, 18, v57
	v_sub_u16_e32 v109, v86, v4
	v_lshlrev_b32_sdwa v9, v24, v109 dst_sel:DWORD dst_unused:UNUSED_PAD src0_sel:DWORD src1_sel:BYTE_0
	s_waitcnt lgkmcnt(0)
	s_barrier
	global_load_dwordx4 v[4:7], v9, s[8:9] offset:256
	global_load_dwordx4 v[12:15], v9, s[8:9] offset:272
	v_mul_lo_u16_sdwa v8, v90, v8 dst_sel:DWORD dst_unused:UNUSED_PAD src0_sel:BYTE_0 src1_sel:DWORD
	v_lshrrev_b16_e32 v116, 10, v8
	v_mul_lo_u16_e32 v8, 18, v116
	v_sub_u16_e32 v117, v90, v8
	v_lshlrev_b32_sdwa v8, v24, v117 dst_sel:DWORD dst_unused:UNUSED_PAD src0_sel:DWORD src1_sel:BYTE_0
	s_mov_b32 s12, 0xe38f
	global_load_dwordx4 v[16:19], v8, s[8:9] offset:256
	global_load_dwordx4 v[20:23], v8, s[8:9] offset:272
	v_mul_u32_u24_sdwa v8, v97, s12 dst_sel:DWORD dst_unused:UNUSED_PAD src0_sel:WORD_0 src1_sel:DWORD
	v_lshrrev_b32_e32 v118, 20, v8
	v_mul_lo_u16_e32 v8, 18, v118
	v_sub_u16_e32 v119, v97, v8
	v_lshlrev_b32_e32 v8, 5, v119
	global_load_dwordx4 v[24:27], v8, s[8:9] offset:256
	global_load_dwordx4 v[28:31], v8, s[8:9] offset:272
	v_mul_u32_u24_sdwa v8, v96, s12 dst_sel:DWORD dst_unused:UNUSED_PAD src0_sel:WORD_0 src1_sel:DWORD
	v_lshrrev_b32_e32 v120, 20, v8
	v_mul_lo_u16_e32 v8, 18, v120
	v_sub_u16_e32 v121, v96, v8
	v_lshlrev_b32_e32 v8, 5, v121
	;; [unrolled: 7-line block ×3, first 2 shown]
	global_load_dwordx4 v[44:47], v8, s[8:9] offset:256
	global_load_dwordx4 v[48:51], v8, s[8:9] offset:272
	ds_read_b128 v[52:55], v43
	ds_read_b128 v[8:11], v56
	ds_read_b128 v[58:61], v102 offset:20160
	s_waitcnt vmcnt(9) lgkmcnt(2)
	v_mul_f64 v[62:63], v[54:55], v[6:7]
	v_mul_f64 v[64:65], v[52:53], v[6:7]
	v_fma_f64 v[62:63], v[52:53], v[4:5], -v[62:63]
	v_fmac_f64_e32 v[64:65], v[54:55], v[4:5]
	ds_read_b128 v[4:7], v102 offset:18144
	ds_read_b128 v[52:55], v102 offset:12096
	s_waitcnt vmcnt(8) lgkmcnt(2)
	v_mul_f64 v[66:67], v[60:61], v[14:15]
	v_mul_f64 v[68:69], v[58:59], v[14:15]
	v_fma_f64 v[66:67], v[58:59], v[12:13], -v[66:67]
	v_fmac_f64_e32 v[68:69], v[60:61], v[12:13]
	ds_read_b128 v[12:15], v102
	ds_read_b128 v[58:61], v102 offset:22176
	s_waitcnt vmcnt(7) lgkmcnt(2)
	v_mul_f64 v[70:71], v[54:55], v[18:19]
	v_mul_f64 v[72:73], v[52:53], v[18:19]
	v_fma_f64 v[70:71], v[52:53], v[16:17], -v[70:71]
	v_fmac_f64_e32 v[72:73], v[54:55], v[16:17]
	ds_read_b128 v[16:19], v102 offset:24192
	ds_read_b128 v[52:55], v102 offset:14112
	s_waitcnt vmcnt(6) lgkmcnt(2)
	v_mul_f64 v[74:75], v[60:61], v[22:23]
	v_fma_f64 v[74:75], v[58:59], v[20:21], -v[74:75]
	v_mul_f64 v[58:59], v[58:59], v[22:23]
	v_fmac_f64_e32 v[58:59], v[60:61], v[20:21]
	ds_read_b128 v[20:23], v102 offset:16128
	s_waitcnt vmcnt(5) lgkmcnt(1)
	v_mul_f64 v[60:61], v[54:55], v[26:27]
	v_fma_f64 v[60:61], v[52:53], v[24:25], -v[60:61]
	v_mul_f64 v[52:53], v[52:53], v[26:27]
	v_fmac_f64_e32 v[52:53], v[54:55], v[24:25]
	s_waitcnt vmcnt(4)
	v_mul_f64 v[24:25], v[18:19], v[30:31]
	v_mul_f64 v[76:77], v[16:17], v[30:31]
	v_fma_f64 v[54:55], v[16:17], v[28:29], -v[24:25]
	v_fmac_f64_e32 v[76:77], v[18:19], v[28:29]
	ds_read_b128 v[16:19], v102 offset:26208
	s_waitcnt vmcnt(3) lgkmcnt(1)
	v_mul_f64 v[24:25], v[22:23], v[34:35]
	v_mul_f64 v[34:35], v[20:21], v[34:35]
	v_fma_f64 v[78:79], v[20:21], v[32:33], -v[24:25]
	v_fmac_f64_e32 v[34:35], v[22:23], v[32:33]
	ds_read_b128 v[20:23], v102 offset:28224
	s_waitcnt vmcnt(2) lgkmcnt(1)
	v_mul_f64 v[24:25], v[18:19], v[38:39]
	v_fma_f64 v[80:81], v[16:17], v[36:37], -v[24:25]
	v_mul_f64 v[82:83], v[16:17], v[38:39]
	s_waitcnt vmcnt(1)
	v_mul_f64 v[16:17], v[6:7], v[46:47]
	v_fma_f64 v[110:111], v[4:5], v[44:45], -v[16:17]
	v_mul_f64 v[112:113], v[4:5], v[46:47]
	s_waitcnt vmcnt(0) lgkmcnt(0)
	v_mul_f64 v[4:5], v[22:23], v[50:51]
	v_fma_f64 v[114:115], v[20:21], v[48:49], -v[4:5]
	v_add_f64 v[4:5], v[12:13], v[62:63]
	v_add_f64 v[16:17], v[4:5], v[66:67]
	;; [unrolled: 1-line block ×3, first 2 shown]
	v_fmac_f64_e32 v[82:83], v[18:19], v[36:37]
	v_add_f64 v[18:19], v[4:5], v[68:69]
	v_mul_u32_u24_e32 v4, 0x360, v57
	v_lshlrev_b32_sdwa v5, v107, v109 dst_sel:DWORD dst_unused:UNUSED_PAD src0_sel:DWORD src1_sel:BYTE_0
	v_mul_f64 v[50:51], v[20:21], v[50:51]
	v_add3_u32 v32, 0, v4, v5
	v_fmac_f64_e32 v[112:113], v[6:7], v[44:45]
	v_fmac_f64_e32 v[50:51], v[22:23], v[48:49]
	ds_read_b128 v[20:23], v40
	ds_read_b128 v[24:27], v41
	;; [unrolled: 1-line block ×3, first 2 shown]
	s_waitcnt lgkmcnt(0)
	s_barrier
	ds_write_b128 v32, v[16:19]
	v_add_f64 v[16:17], v[62:63], v[66:67]
	v_fmac_f64_e32 v[12:13], -0.5, v[16:17]
	v_add_f64 v[16:17], v[64:65], v[68:69]
	v_add_f64 v[28:29], v[64:65], -v[68:69]
	v_fmac_f64_e32 v[14:15], -0.5, v[16:17]
	v_add_f64 v[30:31], v[62:63], -v[66:67]
	v_fma_f64 v[16:17], s[2:3], v[28:29], v[12:13]
	v_fma_f64 v[18:19], s[10:11], v[30:31], v[14:15]
	v_fmac_f64_e32 v[12:13], s[10:11], v[28:29]
	v_fmac_f64_e32 v[14:15], s[2:3], v[30:31]
	ds_write_b128 v32, v[16:19] offset:288
	ds_write_b128 v32, v[12:15] offset:576
	v_add_f64 v[12:13], v[8:9], v[70:71]
	v_add_f64 v[14:15], v[10:11], v[72:73]
	v_mul_u32_u24_e32 v16, 0x360, v116
	v_lshlrev_b32_sdwa v17, v107, v117 dst_sel:DWORD dst_unused:UNUSED_PAD src0_sel:DWORD src1_sel:BYTE_0
	v_add_f64 v[12:13], v[12:13], v[74:75]
	v_add_f64 v[14:15], v[14:15], v[58:59]
	v_add3_u32 v57, 0, v16, v17
	ds_write_b128 v57, v[12:15]
	v_add_f64 v[12:13], v[70:71], v[74:75]
	v_fmac_f64_e32 v[8:9], -0.5, v[12:13]
	v_add_f64 v[14:15], v[72:73], -v[58:59]
	v_fma_f64 v[12:13], s[2:3], v[14:15], v[8:9]
	v_fmac_f64_e32 v[8:9], s[10:11], v[14:15]
	v_add_f64 v[14:15], v[72:73], v[58:59]
	v_fmac_f64_e32 v[10:11], -0.5, v[14:15]
	v_add_f64 v[16:17], v[70:71], -v[74:75]
	v_fma_f64 v[14:15], s[10:11], v[16:17], v[10:11]
	v_fmac_f64_e32 v[10:11], s[2:3], v[16:17]
	v_add_f64 v[16:17], v[60:61], v[54:55]
	v_add_f64 v[18:19], v[20:21], v[60:61]
	v_fmac_f64_e32 v[20:21], -0.5, v[16:17]
	v_add_f64 v[28:29], v[52:53], -v[76:77]
	v_fma_f64 v[16:17], s[2:3], v[28:29], v[20:21]
	v_fmac_f64_e32 v[20:21], s[10:11], v[28:29]
	v_add_f64 v[28:29], v[18:19], v[54:55]
	v_add_f64 v[18:19], v[22:23], v[52:53]
	;; [unrolled: 1-line block ×4, first 2 shown]
	v_fmac_f64_e32 v[22:23], -0.5, v[18:19]
	v_add_f64 v[32:33], v[60:61], -v[54:55]
	v_fma_f64 v[18:19], s[10:11], v[32:33], v[22:23]
	v_fmac_f64_e32 v[22:23], s[2:3], v[32:33]
	v_add_f64 v[32:33], v[78:79], v[80:81]
	v_add_f64 v[36:37], v[24:25], v[78:79]
	v_fmac_f64_e32 v[24:25], -0.5, v[32:33]
	v_add_f64 v[38:39], v[34:35], -v[82:83]
	v_fma_f64 v[32:33], s[2:3], v[38:39], v[24:25]
	v_fmac_f64_e32 v[24:25], s[10:11], v[38:39]
	v_add_f64 v[38:39], v[26:27], v[34:35]
	v_add_f64 v[34:35], v[34:35], v[82:83]
	v_fmac_f64_e32 v[26:27], -0.5, v[34:35]
	v_add_f64 v[40:41], v[78:79], -v[80:81]
	v_fma_f64 v[34:35], s[10:11], v[40:41], v[26:27]
	v_fmac_f64_e32 v[26:27], s[2:3], v[40:41]
	v_add_f64 v[40:41], v[110:111], v[114:115]
	ds_write_b128 v57, v[12:15] offset:288
	ds_write_b128 v57, v[8:11] offset:576
	v_mul_u32_u24_e32 v8, 0x360, v118
	v_lshlrev_b32_e32 v9, 4, v119
	v_add_f64 v[42:43], v[4:5], v[110:111]
	v_fmac_f64_e32 v[4:5], -0.5, v[40:41]
	v_add_f64 v[44:45], v[112:113], -v[50:51]
	v_add3_u32 v8, 0, v8, v9
	v_fma_f64 v[40:41], s[2:3], v[44:45], v[4:5]
	v_fmac_f64_e32 v[4:5], s[10:11], v[44:45]
	v_add_f64 v[44:45], v[42:43], v[114:115]
	v_add_f64 v[42:43], v[6:7], v[112:113]
	ds_write_b128 v8, v[28:31]
	ds_write_b128 v8, v[16:19] offset:288
	ds_write_b128 v8, v[20:23] offset:576
	v_mul_u32_u24_e32 v8, 0x360, v120
	v_lshlrev_b32_e32 v9, 4, v121
	v_add_f64 v[36:37], v[36:37], v[80:81]
	v_add_f64 v[38:39], v[38:39], v[82:83]
	;; [unrolled: 1-line block ×4, first 2 shown]
	v_add3_u32 v8, 0, v8, v9
	v_fmac_f64_e32 v[6:7], -0.5, v[42:43]
	v_add_f64 v[48:49], v[110:111], -v[114:115]
	ds_write_b128 v8, v[36:39]
	ds_write_b128 v8, v[32:35] offset:288
	ds_write_b128 v8, v[24:27] offset:576
	v_mul_u32_u24_e32 v8, 0x360, v122
	v_lshlrev_b32_e32 v9, 4, v123
	v_fma_f64 v[42:43], s[10:11], v[48:49], v[6:7]
	v_add3_u32 v8, 0, v8, v9
	v_fmac_f64_e32 v[6:7], s[2:3], v[48:49]
	ds_write_b128 v8, v[44:47]
	ds_write_b128 v8, v[40:43] offset:288
	ds_write_b128 v8, v[4:7] offset:576
	s_waitcnt lgkmcnt(0)
	s_barrier
	ds_read_b128 v[32:35], v102
	ds_read_b128 v[80:83], v102 offset:4320
	ds_read_b128 v[76:79], v102 offset:8640
	;; [unrolled: 1-line block ×11, first 2 shown]
	ds_read_b128 v[28:31], v56
	ds_read_b128 v[56:59], v102 offset:27936
	v_sub_u32_e32 v8, 0, v108
	v_add_u32_e32 v104, v104, v8
	v_cmp_gt_u32_e64 s[2:3], 18, v86
                                        ; implicit-def: $vgpr26_vgpr27
                                        ; implicit-def: $vgpr22_vgpr23
                                        ; implicit-def: $vgpr18_vgpr19
                                        ; implicit-def: $vgpr14_vgpr15
                                        ; implicit-def: $vgpr10_vgpr11
	s_and_saveexec_b64 s[10:11], s[2:3]
	s_cbranch_execz .LBB0_17
; %bb.16:
	ds_read_b128 v[4:7], v104
	ds_read_b128 v[0:3], v102 offset:8352
	ds_read_b128 v[8:11], v102 offset:12672
	;; [unrolled: 1-line block ×6, first 2 shown]
.LBB0_17:
	s_or_b64 exec, exec, s[10:11]
	v_mov_b32_e32 v110, 19
	v_mul_lo_u16_sdwa v108, v86, v110 dst_sel:DWORD dst_unused:UNUSED_PAD src0_sel:BYTE_0 src1_sel:DWORD
	v_lshrrev_b16_e32 v108, 10, v108
	v_mul_lo_u16_e32 v109, 54, v108
	v_sub_u16_e32 v109, v86, v109
	v_mov_b32_e32 v136, 6
	v_mul_u32_u24_sdwa v111, v109, v136 dst_sel:DWORD dst_unused:UNUSED_PAD src0_sel:BYTE_0 src1_sel:DWORD
	v_mul_lo_u16_sdwa v110, v90, v110 dst_sel:DWORD dst_unused:UNUSED_PAD src0_sel:BYTE_0 src1_sel:DWORD
	v_lshlrev_b32_e32 v111, 4, v111
	v_lshrrev_b16_e32 v110, 10, v110
	global_load_dwordx4 v[112:115], v111, s[8:9] offset:832
	global_load_dwordx4 v[116:119], v111, s[8:9] offset:848
	;; [unrolled: 1-line block ×6, first 2 shown]
	v_mul_lo_u16_e32 v111, 54, v110
	v_sub_u16_e32 v111, v90, v111
	v_mul_u32_u24_sdwa v136, v111, v136 dst_sel:DWORD dst_unused:UNUSED_PAD src0_sel:BYTE_0 src1_sel:DWORD
	v_lshlrev_b32_e32 v156, 4, v136
	global_load_dwordx4 v[136:139], v156, s[8:9] offset:832
	global_load_dwordx4 v[140:143], v156, s[8:9] offset:848
	;; [unrolled: 1-line block ×5, first 2 shown]
	s_nop 0
	global_load_dwordx4 v[156:159], v156, s[8:9] offset:912
	s_mov_b32 s14, 0x37e14327
	s_mov_b32 s16, 0x36b3c0b5
	;; [unrolled: 1-line block ×20, first 2 shown]
	v_mul_u32_u24_e32 v108, 0x17a0, v108
	v_lshlrev_b32_sdwa v109, v107, v109 dst_sel:DWORD dst_unused:UNUSED_PAD src0_sel:DWORD src1_sel:BYTE_0
	v_add3_u32 v108, 0, v108, v109
	s_waitcnt lgkmcnt(0)
	s_barrier
	v_sub_u32_e32 v105, 0, v105
	v_sub_u32_e32 v106, 0, v106
	s_waitcnt vmcnt(11)
	v_mul_f64 v[160:161], v[82:83], v[114:115]
	v_mul_f64 v[114:115], v[80:81], v[114:115]
	s_waitcnt vmcnt(10)
	v_mul_f64 v[162:163], v[78:79], v[118:119]
	v_mul_f64 v[118:119], v[76:77], v[118:119]
	v_fma_f64 v[80:81], v[80:81], v[112:113], -v[160:161]
	v_fmac_f64_e32 v[114:115], v[82:83], v[112:113]
	s_waitcnt vmcnt(9)
	v_mul_f64 v[82:83], v[74:75], v[122:123]
	v_mul_f64 v[112:113], v[72:73], v[122:123]
	s_waitcnt vmcnt(8)
	v_mul_f64 v[122:123], v[70:71], v[126:127]
	v_mul_f64 v[126:127], v[68:69], v[126:127]
	v_fma_f64 v[76:77], v[76:77], v[116:117], -v[162:163]
	v_fmac_f64_e32 v[118:119], v[78:79], v[116:117]
	s_waitcnt vmcnt(6)
	v_mul_f64 v[78:79], v[66:67], v[134:135]
	v_mul_f64 v[116:117], v[64:65], v[134:135]
	;; [unrolled: 1-line block ×4, first 2 shown]
	v_fmac_f64_e32 v[112:113], v[74:75], v[120:121]
	s_waitcnt vmcnt(5)
	v_mul_f64 v[74:75], v[38:39], v[138:139]
	v_fmac_f64_e32 v[126:127], v[70:71], v[124:125]
	s_waitcnt vmcnt(3)
	v_mul_f64 v[70:71], v[46:47], v[146:147]
	v_fma_f64 v[64:65], v[64:65], v[132:133], -v[78:79]
	v_fma_f64 v[60:61], v[60:61], v[128:129], -v[134:135]
	;; [unrolled: 1-line block ×3, first 2 shown]
	v_mul_f64 v[82:83], v[36:37], v[138:139]
	v_mul_f64 v[120:121], v[42:43], v[142:143]
	v_fma_f64 v[68:69], v[68:69], v[124:125], -v[122:123]
	v_mul_f64 v[122:123], v[44:45], v[146:147]
	v_fmac_f64_e32 v[116:117], v[66:67], v[132:133]
	s_waitcnt vmcnt(1)
	v_mul_f64 v[66:67], v[54:55], v[154:155]
	v_fmac_f64_e32 v[130:131], v[62:63], v[128:129]
	v_fma_f64 v[62:63], v[36:37], v[136:137], -v[74:75]
	v_fma_f64 v[70:71], v[44:45], v[144:145], -v[70:71]
	v_add_f64 v[36:37], v[80:81], v[60:61]
	v_add_f64 v[44:45], v[76:77], v[64:65]
	v_mul_f64 v[138:139], v[40:41], v[142:143]
	v_mul_f64 v[124:125], v[50:51], v[150:151]
	;; [unrolled: 1-line block ×3, first 2 shown]
	s_waitcnt vmcnt(0)
	v_mul_f64 v[132:133], v[58:59], v[158:159]
	v_fmac_f64_e32 v[82:83], v[38:39], v[136:137]
	v_fma_f64 v[74:75], v[40:41], v[140:141], -v[120:121]
	v_fmac_f64_e32 v[122:123], v[46:47], v[144:145]
	v_fma_f64 v[66:67], v[52:53], v[152:153], -v[66:67]
	v_add_f64 v[38:39], v[114:115], v[130:131]
	v_add_f64 v[40:41], v[80:81], -v[60:61]
	v_add_f64 v[46:47], v[118:119], v[116:117]
	v_add_f64 v[52:53], v[72:73], v[68:69]
	;; [unrolled: 1-line block ×3, first 2 shown]
	v_mul_f64 v[142:143], v[48:49], v[150:151]
	v_mul_f64 v[146:147], v[56:57], v[158:159]
	v_fma_f64 v[120:121], v[48:49], v[148:149], -v[124:125]
	v_fmac_f64_e32 v[78:79], v[54:55], v[152:153]
	v_fma_f64 v[124:125], v[56:57], v[156:157], -v[132:133]
	v_add_f64 v[48:49], v[76:77], -v[64:65]
	v_add_f64 v[54:55], v[112:113], v[126:127]
	v_add_f64 v[56:57], v[68:69], -v[72:73]
	v_add_f64 v[64:65], v[46:47], v[38:39]
	v_add_f64 v[68:69], v[44:45], -v[36:37]
	v_add_f64 v[36:37], v[36:37], -v[52:53]
	;; [unrolled: 1-line block ×3, first 2 shown]
	v_add_f64 v[52:53], v[52:53], v[60:61]
	v_fmac_f64_e32 v[138:139], v[42:43], v[140:141]
	v_fmac_f64_e32 v[142:143], v[50:51], v[148:149]
	;; [unrolled: 1-line block ×3, first 2 shown]
	v_add_f64 v[42:43], v[114:115], -v[130:131]
	v_add_f64 v[50:51], v[118:119], -v[116:117]
	;; [unrolled: 1-line block ×6, first 2 shown]
	v_add_f64 v[54:55], v[54:55], v[64:65]
	v_add_f64 v[32:33], v[32:33], v[52:53]
	;; [unrolled: 1-line block ×4, first 2 shown]
	v_add_f64 v[112:113], v[56:57], -v[48:49]
	v_add_f64 v[114:115], v[58:59], -v[50:51]
	;; [unrolled: 1-line block ×4, first 2 shown]
	v_add_f64 v[34:35], v[34:35], v[54:55]
	v_mov_b64_e32 v[116:117], v[32:33]
	v_add_f64 v[56:57], v[40:41], -v[56:57]
	v_add_f64 v[58:59], v[42:43], -v[58:59]
	v_add_f64 v[40:41], v[76:77], v[40:41]
	v_add_f64 v[42:43], v[80:81], v[42:43]
	v_mul_f64 v[36:37], v[36:37], s[14:15]
	v_mul_f64 v[38:39], v[38:39], s[14:15]
	;; [unrolled: 1-line block ×8, first 2 shown]
	v_fmac_f64_e32 v[116:117], s[18:19], v[52:53]
	v_mov_b64_e32 v[52:53], v[34:35]
	v_fmac_f64_e32 v[52:53], s[18:19], v[54:55]
	v_fma_f64 v[54:55], v[68:69], s[12:13], -v[60:61]
	v_fma_f64 v[60:61], v[72:73], s[12:13], -v[64:65]
	v_fma_f64 v[64:65], v[68:69], s[24:25], -v[36:37]
	v_fmac_f64_e32 v[36:37], s[16:17], v[44:45]
	v_fma_f64 v[44:45], v[72:73], s[24:25], -v[38:39]
	v_fma_f64 v[68:69], v[48:49], s[10:11], -v[76:77]
	v_fmac_f64_e32 v[76:77], s[28:29], v[56:57]
	v_fma_f64 v[48:49], v[50:51], s[10:11], -v[80:81]
	v_fmac_f64_e32 v[80:81], s[28:29], v[58:59]
	v_fma_f64 v[56:57], v[56:57], s[26:27], -v[112:113]
	v_fma_f64 v[58:59], v[58:59], s[26:27], -v[114:115]
	v_fmac_f64_e32 v[38:39], s[16:17], v[46:47]
	v_add_f64 v[72:73], v[36:37], v[116:117]
	v_add_f64 v[50:51], v[54:55], v[116:117]
	;; [unrolled: 1-line block ×5, first 2 shown]
	v_fmac_f64_e32 v[80:81], s[22:23], v[42:43]
	v_fmac_f64_e32 v[68:69], s[22:23], v[40:41]
	;; [unrolled: 1-line block ×5, first 2 shown]
	v_add_f64 v[112:113], v[38:39], v[52:53]
	v_fmac_f64_e32 v[76:77], s[22:23], v[40:41]
	v_add_f64 v[36:37], v[80:81], v[72:73]
	v_add_f64 v[40:41], v[58:59], v[60:61]
	v_add_f64 v[42:43], v[64:65], -v[56:57]
	v_add_f64 v[44:45], v[50:51], -v[48:49]
	v_add_f64 v[46:47], v[68:69], v[54:55]
	v_add_f64 v[48:49], v[48:49], v[50:51]
	v_add_f64 v[50:51], v[54:55], -v[68:69]
	v_add_f64 v[52:53], v[60:61], -v[58:59]
	v_add_f64 v[54:55], v[56:57], v[64:65]
	v_add_f64 v[56:57], v[72:73], -v[80:81]
	v_add_f64 v[60:61], v[62:63], v[124:125]
	v_add_f64 v[72:73], v[74:75], v[66:67]
	v_add_f64 v[38:39], v[112:113], -v[76:77]
	v_add_f64 v[58:59], v[76:77], v[112:113]
	v_add_f64 v[64:65], v[82:83], v[146:147]
	v_add_f64 v[76:77], v[138:139], v[78:79]
	v_add_f64 v[66:67], v[74:75], -v[66:67]
	v_add_f64 v[74:75], v[138:139], -v[78:79]
	v_add_f64 v[78:79], v[70:71], v[120:121]
	v_add_f64 v[112:113], v[72:73], v[60:61]
	;; [unrolled: 1-line block ×4, first 2 shown]
	v_add_f64 v[116:117], v[72:73], -v[60:61]
	v_add_f64 v[60:61], v[60:61], -v[78:79]
	v_add_f64 v[72:73], v[78:79], -v[72:73]
	v_add_f64 v[78:79], v[78:79], v[112:113]
	v_add_f64 v[62:63], v[62:63], -v[124:125]
	v_add_f64 v[68:69], v[82:83], -v[146:147]
	;; [unrolled: 1-line block ×7, first 2 shown]
	v_add_f64 v[80:81], v[80:81], v[114:115]
	v_add_f64 v[28:29], v[28:29], v[78:79]
	;; [unrolled: 1-line block ×4, first 2 shown]
	v_add_f64 v[124:125], v[70:71], -v[66:67]
	v_add_f64 v[126:127], v[82:83], -v[74:75]
	;; [unrolled: 1-line block ×4, first 2 shown]
	v_add_f64 v[30:31], v[30:31], v[80:81]
	v_mov_b64_e32 v[128:129], v[28:29]
	v_add_f64 v[70:71], v[62:63], -v[70:71]
	v_add_f64 v[82:83], v[68:69], -v[82:83]
	v_add_f64 v[62:63], v[120:121], v[62:63]
	v_add_f64 v[68:69], v[122:123], v[68:69]
	v_mul_f64 v[60:61], v[60:61], s[14:15]
	v_mul_f64 v[64:65], v[64:65], s[14:15]
	;; [unrolled: 1-line block ×8, first 2 shown]
	v_fmac_f64_e32 v[128:129], s[18:19], v[78:79]
	v_mov_b64_e32 v[78:79], v[30:31]
	v_fmac_f64_e32 v[78:79], s[18:19], v[80:81]
	v_fma_f64 v[80:81], v[116:117], s[12:13], -v[112:113]
	v_fma_f64 v[112:113], v[118:119], s[12:13], -v[114:115]
	;; [unrolled: 1-line block ×3, first 2 shown]
	v_fmac_f64_e32 v[60:61], s[16:17], v[72:73]
	v_fma_f64 v[72:73], v[118:119], s[24:25], -v[64:65]
	v_fmac_f64_e32 v[64:65], s[16:17], v[76:77]
	v_fma_f64 v[76:77], v[66:67], s[10:11], -v[120:121]
	;; [unrolled: 2-line block ×4, first 2 shown]
	v_fma_f64 v[82:83], v[82:83], s[26:27], -v[126:127]
	ds_write_b128 v108, v[32:35]
	ds_write_b128 v108, v[36:39] offset:864
	ds_write_b128 v108, v[40:43] offset:1728
	;; [unrolled: 1-line block ×6, first 2 shown]
	v_mul_u32_u24_e32 v32, 0x17a0, v110
	v_lshlrev_b32_sdwa v33, v107, v111 dst_sel:DWORD dst_unused:UNUSED_PAD src0_sel:DWORD src1_sel:BYTE_0
	v_add_f64 v[118:119], v[60:61], v[128:129]
	v_add_f64 v[124:125], v[64:65], v[78:79]
	;; [unrolled: 1-line block ×6, first 2 shown]
	v_fmac_f64_e32 v[120:121], s[22:23], v[62:63]
	v_fmac_f64_e32 v[122:123], s[22:23], v[68:69]
	;; [unrolled: 1-line block ×6, first 2 shown]
	v_add3_u32 v32, 0, v32, v33
	v_add_f64 v[60:61], v[122:123], v[118:119]
	v_add_f64 v[62:63], v[124:125], -v[120:121]
	v_add_f64 v[64:65], v[82:83], v[114:115]
	v_add_f64 v[66:67], v[78:79], -v[116:117]
	v_add_f64 v[68:69], v[80:81], -v[74:75]
	v_add_f64 v[70:71], v[76:77], v[112:113]
	v_add_f64 v[72:73], v[74:75], v[80:81]
	v_add_f64 v[74:75], v[112:113], -v[76:77]
	v_add_f64 v[76:77], v[114:115], -v[82:83]
	v_add_f64 v[78:79], v[116:117], v[78:79]
	v_add_f64 v[80:81], v[118:119], -v[122:123]
	v_add_f64 v[82:83], v[120:121], v[124:125]
	ds_write_b128 v32, v[28:31]
	ds_write_b128 v32, v[60:63] offset:864
	ds_write_b128 v32, v[64:67] offset:1728
	;; [unrolled: 1-line block ×6, first 2 shown]
	s_and_saveexec_b64 s[30:31], s[2:3]
	s_cbranch_execz .LBB0_19
; %bb.18:
	v_lshrrev_b16_e32 v28, 1, v97
	v_mul_u32_u24_e32 v28, 0x97b5, v28
	v_lshrrev_b32_e32 v28, 20, v28
	v_mul_lo_u16_e32 v28, 54, v28
	v_sub_u16_e32 v64, v97, v28
	v_mul_u32_u24_e32 v28, 6, v64
	v_lshlrev_b32_e32 v52, 4, v28
	global_load_dwordx4 v[28:31], v52, s[8:9] offset:880
	global_load_dwordx4 v[32:35], v52, s[8:9] offset:864
	;; [unrolled: 1-line block ×6, first 2 shown]
	s_waitcnt vmcnt(5)
	v_mul_f64 v[52:53], v[18:19], v[30:31]
	s_waitcnt vmcnt(4)
	v_mul_f64 v[54:55], v[14:15], v[34:35]
	;; [unrolled: 2-line block ×6, first 2 shown]
	v_mul_f64 v[34:35], v[12:13], v[34:35]
	v_mul_f64 v[38:39], v[8:9], v[38:39]
	v_mul_f64 v[42:43], v[20:21], v[42:43]
	v_mul_f64 v[46:47], v[0:1], v[46:47]
	v_mul_f64 v[50:51], v[24:25], v[50:51]
	v_fma_f64 v[8:9], v[8:9], v[36:37], -v[56:57]
	v_fma_f64 v[20:21], v[20:21], v[40:41], -v[58:59]
	;; [unrolled: 1-line block ×4, first 2 shown]
	v_mul_f64 v[30:31], v[16:17], v[30:31]
	v_fma_f64 v[16:17], v[16:17], v[28:29], -v[52:53]
	v_fma_f64 v[12:13], v[12:13], v[32:33], -v[54:55]
	v_fmac_f64_e32 v[34:35], v[14:15], v[32:33]
	v_fmac_f64_e32 v[38:39], v[10:11], v[36:37]
	;; [unrolled: 1-line block ×3, first 2 shown]
	v_add_f64 v[10:11], v[8:9], -v[20:21]
	v_add_f64 v[14:15], v[0:1], -v[24:25]
	v_add_f64 v[8:9], v[8:9], v[20:21]
	v_add_f64 v[0:1], v[0:1], v[24:25]
	v_fmac_f64_e32 v[30:31], v[18:19], v[28:29]
	v_fmac_f64_e32 v[46:47], v[2:3], v[44:45]
	;; [unrolled: 1-line block ×3, first 2 shown]
	v_add_f64 v[2:3], v[16:17], -v[12:13]
	v_add_f64 v[22:23], v[38:39], v[42:43]
	v_add_f64 v[12:13], v[12:13], v[16:17]
	v_add_f64 v[20:21], v[38:39], -v[42:43]
	v_add_f64 v[42:43], v[8:9], v[0:1]
	v_add_f64 v[18:19], v[34:35], v[30:31]
	;; [unrolled: 1-line block ×3, first 2 shown]
	v_add_f64 v[16:17], v[30:31], -v[34:35]
	v_add_f64 v[28:29], v[2:3], v[10:11]
	v_add_f64 v[30:31], v[2:3], -v[10:11]
	v_add_f64 v[38:39], v[12:13], -v[8:9]
	;; [unrolled: 1-line block ×4, first 2 shown]
	v_add_f64 v[12:13], v[12:13], v[42:43]
	v_add_f64 v[24:25], v[46:47], -v[50:51]
	v_add_f64 v[32:33], v[14:15], -v[2:3]
	;; [unrolled: 1-line block ×4, first 2 shown]
	v_add_f64 v[36:37], v[22:23], v[26:27]
	v_add_f64 v[44:45], v[16:17], v[20:21]
	v_add_f64 v[22:23], v[22:23], -v[26:27]
	v_add_f64 v[26:27], v[8:9], -v[0:1]
	v_add_f64 v[14:15], v[28:29], v[14:15]
	v_mul_f64 v[28:29], v[30:31], s[20:21]
	v_mul_f64 v[42:43], v[48:49], s[10:11]
	v_add_f64 v[0:1], v[4:5], v[12:13]
	v_add_f64 v[46:47], v[16:17], -v[20:21]
	v_mul_f64 v[8:9], v[34:35], s[14:15]
	v_add_f64 v[10:11], v[18:19], v[36:37]
	v_mul_f64 v[34:35], v[40:41], s[14:15]
	v_add_f64 v[36:37], v[44:45], v[24:25]
	v_fma_f64 v[44:45], s[28:29], v[32:33], v[28:29]
	v_fma_f64 v[32:33], v[32:33], s[26:27], -v[42:43]
	v_mov_b64_e32 v[42:43], v[0:1]
	v_mul_f64 v[30:31], v[2:3], s[16:17]
	v_mul_f64 v[40:41], v[46:47], s[20:21]
	v_fma_f64 v[46:47], s[16:17], v[2:3], v[8:9]
	v_add_f64 v[2:3], v[6:7], v[10:11]
	v_fma_f64 v[4:5], v[22:23], s[24:25], -v[8:9]
	v_fma_f64 v[8:9], v[26:27], s[24:25], -v[34:35]
	v_fmac_f64_e32 v[42:43], s[18:19], v[12:13]
	v_add_f64 v[12:13], v[20:21], -v[24:25]
	v_add_f64 v[16:17], v[24:25], -v[16:17]
	v_mul_f64 v[18:19], v[38:39], s[16:17]
	v_fma_f64 v[6:7], s[16:17], v[38:39], v[34:35]
	v_mov_b64_e32 v[34:35], v[2:3]
	v_add_f64 v[54:55], v[8:9], v[42:43]
	v_mul_f64 v[8:9], v[12:13], s[10:11]
	v_fma_f64 v[38:39], s[28:29], v[16:17], v[40:41]
	v_fmac_f64_e32 v[34:35], s[18:19], v[10:11]
	v_fma_f64 v[20:21], v[16:17], s[26:27], -v[8:9]
	v_fma_f64 v[16:17], v[22:23], s[12:13], -v[30:31]
	;; [unrolled: 1-line block ×5, first 2 shown]
	v_fmac_f64_e32 v[44:45], s[22:23], v[14:15]
	v_fmac_f64_e32 v[38:39], s[22:23], v[36:37]
	;; [unrolled: 1-line block ×3, first 2 shown]
	v_add_f64 v[46:47], v[46:47], v[34:35]
	v_add_f64 v[50:51], v[6:7], v[42:43]
	v_add_f64 v[52:53], v[4:5], v[34:35]
	v_fmac_f64_e32 v[20:21], s[22:23], v[36:37]
	v_add_f64 v[16:17], v[16:17], v[34:35]
	v_fmac_f64_e32 v[22:23], s[22:23], v[14:15]
	v_fmac_f64_e32 v[24:25], s[22:23], v[36:37]
	v_add_f64 v[26:27], v[12:13], v[42:43]
	v_lshl_add_u32 v28, v64, 4, 0
	v_add_f64 v[6:7], v[44:45], v[46:47]
	v_add_f64 v[4:5], v[50:51], -v[38:39]
	v_add_f64 v[10:11], v[32:33], v[52:53]
	v_add_f64 v[8:9], v[54:55], -v[20:21]
	v_add_f64 v[14:15], v[16:17], -v[22:23]
	v_add_f64 v[12:13], v[24:25], v[26:27]
	v_add_f64 v[18:19], v[22:23], v[16:17]
	v_add_f64 v[16:17], v[26:27], -v[24:25]
	v_add_f64 v[22:23], v[52:53], -v[32:33]
	v_add_f64 v[20:21], v[20:21], v[54:55]
	v_add_f64 v[26:27], v[46:47], -v[44:45]
	v_add_f64 v[24:25], v[38:39], v[50:51]
	ds_write_b128 v28, v[0:3] offset:24192
	ds_write_b128 v28, v[24:27] offset:25056
	;; [unrolled: 1-line block ×7, first 2 shown]
.LBB0_19:
	s_or_b64 exec, exec, s[30:31]
	v_lshlrev_b32_e32 v28, 2, v86
	v_mov_b32_e32 v29, 0
	v_lshl_add_u64 v[0:1], v[28:29], 4, s[8:9]
	s_movk_i32 s12, 0x1000
	s_mov_b64 s[10:11], 0x1780
	v_add_co_u32_e64 v2, s[2:3], s12, v0
	v_lshlrev_b32_e32 v28, 2, v90
	s_nop 0
	v_addc_co_u32_e64 v3, s[2:3], 0, v1, s[2:3]
	v_lshl_add_u64 v[0:1], v[0:1], 0, s[10:11]
	s_waitcnt lgkmcnt(0)
	s_barrier
	global_load_dwordx4 v[12:15], v[2:3], off offset:1920
	global_load_dwordx4 v[16:19], v[0:1], off offset:16
	global_load_dwordx4 v[20:23], v[0:1], off offset:32
	global_load_dwordx4 v[24:27], v[0:1], off offset:48
	v_lshl_add_u64 v[0:1], v[28:29], 4, s[8:9]
	v_add_co_u32_e64 v2, s[2:3], s12, v0
	v_lshlrev_b32_e32 v28, 2, v100
	s_nop 0
	v_addc_co_u32_e64 v3, s[2:3], 0, v1, s[2:3]
	global_load_dwordx4 v[30:33], v[2:3], off offset:1920
	v_lshl_add_u64 v[0:1], v[0:1], 0, s[10:11]
	v_lshl_add_u64 v[2:3], v[28:29], 4, s[8:9]
	global_load_dwordx4 v[34:37], v[0:1], off offset:16
	global_load_dwordx4 v[38:41], v[0:1], off offset:32
	;; [unrolled: 1-line block ×3, first 2 shown]
	v_add_co_u32_e64 v0, s[2:3], s12, v2
	v_add_u32_e32 v48, v101, v106
	s_nop 0
	v_addc_co_u32_e64 v1, s[2:3], 0, v3, s[2:3]
	global_load_dwordx4 v[50:53], v[0:1], off offset:1920
	v_lshl_add_u64 v[0:1], v[2:3], 0, s[10:11]
	global_load_dwordx4 v[54:57], v[0:1], off offset:16
	global_load_dwordx4 v[58:61], v[0:1], off offset:32
	;; [unrolled: 1-line block ×3, first 2 shown]
	v_lshl_add_u32 v28, v92, 4, 0
	v_add_u32_e32 v49, v99, v105
	ds_read_b128 v[8:11], v102
	ds_read_b128 v[66:69], v102 offset:8064
	ds_read_b128 v[70:73], v102 offset:24192
	;; [unrolled: 1-line block ×3, first 2 shown]
	ds_read_b128 v[0:3], v104
	ds_read_b128 v[78:81], v102 offset:14112
	ds_read_b128 v[106:109], v102 offset:10080
	ds_read_b128 v[110:113], v102 offset:18144
	ds_read_b128 v[114:117], v102 offset:16128
	ds_read_b128 v[118:121], v48
	ds_read_b128 v[122:125], v102 offset:20160
	ds_read_b128 v[126:129], v102 offset:22176
	ds_read_b128 v[130:133], v28
	ds_read_b128 v[4:7], v49
	ds_read_b128 v[134:137], v102 offset:28224
	s_mov_b32 s10, 0x134454ff
	s_mov_b32 s11, 0x3fee6f0e
	;; [unrolled: 1-line block ×10, first 2 shown]
	s_waitcnt lgkmcnt(0)
	s_barrier
	s_add_u32 s8, s8, 0x7600
	s_addc_u32 s9, s9, 0
	s_waitcnt vmcnt(10)
	v_mul_f64 v[138:139], v[130:131], v[18:19]
	v_mul_f64 v[46:47], v[120:121], v[14:15]
	;; [unrolled: 1-line block ×4, first 2 shown]
	s_waitcnt vmcnt(9)
	v_mul_f64 v[18:19], v[112:113], v[22:23]
	v_mul_f64 v[140:141], v[110:111], v[22:23]
	s_waitcnt vmcnt(8)
	v_mul_f64 v[22:23], v[72:73], v[26:27]
	v_mul_f64 v[142:143], v[70:71], v[26:27]
	v_fma_f64 v[26:27], v[118:119], v[12:13], -v[46:47]
	v_fmac_f64_e32 v[82:83], v[120:121], v[12:13]
	s_waitcnt vmcnt(7)
	v_mul_f64 v[12:13], v[68:69], v[32:33]
	v_fma_f64 v[22:23], v[70:71], v[24:25], -v[22:23]
	v_mul_f64 v[46:47], v[66:67], v[32:33]
	s_waitcnt vmcnt(6)
	v_mul_f64 v[70:71], v[78:79], v[36:37]
	v_fma_f64 v[66:67], v[66:67], v[30:31], -v[12:13]
	s_waitcnt vmcnt(4)
	v_mul_f64 v[12:13], v[76:77], v[44:45]
	v_fma_f64 v[118:119], v[130:131], v[16:17], -v[14:15]
	v_fmac_f64_e32 v[138:139], v[132:133], v[16:17]
	v_fmac_f64_e32 v[142:143], v[72:73], v[24:25]
	v_mul_f64 v[14:15], v[80:81], v[36:37]
	v_mul_f64 v[16:17], v[124:125], v[40:41]
	;; [unrolled: 1-line block ×3, first 2 shown]
	v_fmac_f64_e32 v[70:71], v[80:81], v[34:35]
	v_fma_f64 v[80:81], v[74:75], v[42:43], -v[12:13]
	s_waitcnt vmcnt(3)
	v_mul_f64 v[12:13], v[108:109], v[52:53]
	v_fmac_f64_e32 v[46:47], v[68:69], v[30:31]
	v_fma_f64 v[68:69], v[78:79], v[34:35], -v[14:15]
	v_fma_f64 v[78:79], v[122:123], v[38:39], -v[16:17]
	v_fmac_f64_e32 v[72:73], v[124:125], v[38:39]
	v_fma_f64 v[38:39], v[106:107], v[50:51], -v[12:13]
	s_waitcnt vmcnt(2)
	v_mul_f64 v[12:13], v[116:117], v[56:57]
	v_mul_f64 v[74:75], v[74:75], v[44:45]
	v_fma_f64 v[40:41], v[114:115], v[54:55], -v[12:13]
	s_waitcnt vmcnt(1)
	v_mul_f64 v[12:13], v[128:129], v[60:61]
	v_fmac_f64_e32 v[74:75], v[76:77], v[42:43]
	v_fma_f64 v[42:43], v[126:127], v[58:59], -v[12:13]
	s_waitcnt vmcnt(0)
	v_mul_f64 v[12:13], v[136:137], v[64:65]
	v_fma_f64 v[44:45], v[134:135], v[62:63], -v[12:13]
	v_add_f64 v[12:13], v[8:9], v[26:27]
	v_fma_f64 v[110:111], v[110:111], v[20:21], -v[18:19]
	v_add_f64 v[12:13], v[12:13], v[118:119]
	v_add_f64 v[12:13], v[12:13], v[110:111]
	;; [unrolled: 1-line block ×4, first 2 shown]
	v_fmac_f64_e32 v[140:141], v[112:113], v[20:21]
	v_mul_f64 v[30:31], v[106:107], v[52:53]
	v_fma_f64 v[12:13], -0.5, v[12:13], v[8:9]
	v_add_f64 v[14:15], v[82:83], -v[142:143]
	v_fmac_f64_e32 v[30:31], v[108:109], v[50:51]
	v_fma_f64 v[20:21], s[10:11], v[14:15], v[12:13]
	v_add_f64 v[18:19], v[138:139], -v[140:141]
	v_add_f64 v[24:25], v[26:27], -v[118:119]
	;; [unrolled: 1-line block ×3, first 2 shown]
	v_fmac_f64_e32 v[12:13], s[14:15], v[14:15]
	v_fmac_f64_e32 v[20:21], s[2:3], v[18:19]
	v_add_f64 v[24:25], v[24:25], v[50:51]
	v_fmac_f64_e32 v[12:13], s[16:17], v[18:19]
	v_fmac_f64_e32 v[20:21], s[12:13], v[24:25]
	;; [unrolled: 1-line block ×3, first 2 shown]
	v_add_f64 v[24:25], v[26:27], v[22:23]
	v_fmac_f64_e32 v[8:9], -0.5, v[24:25]
	v_fma_f64 v[24:25], s[14:15], v[18:19], v[8:9]
	v_fmac_f64_e32 v[8:9], s[10:11], v[18:19]
	v_fmac_f64_e32 v[24:25], s[2:3], v[14:15]
	;; [unrolled: 1-line block ×3, first 2 shown]
	v_add_f64 v[14:15], v[10:11], v[82:83]
	v_add_f64 v[14:15], v[14:15], v[138:139]
	v_add_f64 v[50:51], v[118:119], -v[26:27]
	v_add_f64 v[52:53], v[110:111], -v[22:23]
	v_add_f64 v[14:15], v[14:15], v[140:141]
	v_add_f64 v[50:51], v[50:51], v[52:53]
	;; [unrolled: 1-line block ×4, first 2 shown]
	v_mul_f64 v[32:33], v[114:115], v[56:57]
	v_fmac_f64_e32 v[24:25], s[12:13], v[50:51]
	v_fmac_f64_e32 v[8:9], s[12:13], v[50:51]
	v_fma_f64 v[14:15], -0.5, v[14:15], v[10:11]
	v_add_f64 v[50:51], v[26:27], -v[22:23]
	v_fmac_f64_e32 v[32:33], v[116:117], v[54:55]
	v_fma_f64 v[22:23], s[14:15], v[50:51], v[14:15]
	v_add_f64 v[52:53], v[118:119], -v[110:111]
	v_add_f64 v[26:27], v[82:83], -v[138:139]
	;; [unrolled: 1-line block ×3, first 2 shown]
	v_fmac_f64_e32 v[14:15], s[10:11], v[50:51]
	v_fmac_f64_e32 v[22:23], s[16:17], v[52:53]
	v_add_f64 v[26:27], v[26:27], v[54:55]
	v_fmac_f64_e32 v[14:15], s[2:3], v[52:53]
	v_fmac_f64_e32 v[22:23], s[12:13], v[26:27]
	;; [unrolled: 1-line block ×3, first 2 shown]
	v_add_f64 v[26:27], v[82:83], v[142:143]
	v_fmac_f64_e32 v[10:11], -0.5, v[26:27]
	v_fma_f64 v[26:27], s[10:11], v[52:53], v[10:11]
	v_add_f64 v[54:55], v[138:139], -v[82:83]
	v_add_f64 v[56:57], v[140:141], -v[142:143]
	v_fmac_f64_e32 v[10:11], s[14:15], v[52:53]
	v_fmac_f64_e32 v[26:27], s[16:17], v[50:51]
	v_add_f64 v[54:55], v[54:55], v[56:57]
	v_fmac_f64_e32 v[10:11], s[2:3], v[50:51]
	v_add_f64 v[52:53], v[68:69], v[78:79]
	v_mul_f64 v[34:35], v[126:127], v[60:61]
	v_mul_f64 v[36:37], v[134:135], v[64:65]
	v_fmac_f64_e32 v[26:27], s[12:13], v[54:55]
	v_fmac_f64_e32 v[10:11], s[12:13], v[54:55]
	v_fma_f64 v[54:55], -0.5, v[52:53], v[4:5]
	v_add_f64 v[52:53], v[46:47], -v[74:75]
	v_fmac_f64_e32 v[34:35], v[128:129], v[58:59]
	v_fmac_f64_e32 v[36:37], v[136:137], v[62:63]
	v_fma_f64 v[58:59], s[10:11], v[52:53], v[54:55]
	v_add_f64 v[56:57], v[70:71], -v[72:73]
	v_add_f64 v[60:61], v[66:67], -v[68:69]
	;; [unrolled: 1-line block ×3, first 2 shown]
	v_fmac_f64_e32 v[54:55], s[14:15], v[52:53]
	v_fmac_f64_e32 v[58:59], s[2:3], v[56:57]
	v_add_f64 v[60:61], v[60:61], v[62:63]
	v_fmac_f64_e32 v[54:55], s[16:17], v[56:57]
	v_fmac_f64_e32 v[58:59], s[12:13], v[60:61]
	;; [unrolled: 1-line block ×3, first 2 shown]
	v_add_f64 v[60:61], v[66:67], v[80:81]
	v_add_f64 v[50:51], v[4:5], v[66:67]
	v_fmac_f64_e32 v[4:5], -0.5, v[60:61]
	v_fma_f64 v[62:63], s[14:15], v[56:57], v[4:5]
	v_add_f64 v[60:61], v[68:69], -v[66:67]
	v_add_f64 v[64:65], v[78:79], -v[80:81]
	v_fmac_f64_e32 v[4:5], s[10:11], v[56:57]
	v_add_f64 v[56:57], v[70:71], v[72:73]
	v_fmac_f64_e32 v[62:63], s[2:3], v[52:53]
	v_add_f64 v[60:61], v[60:61], v[64:65]
	v_fmac_f64_e32 v[4:5], s[16:17], v[52:53]
	v_fma_f64 v[56:57], -0.5, v[56:57], v[6:7]
	v_add_f64 v[66:67], v[66:67], -v[80:81]
	v_add_f64 v[50:51], v[50:51], v[68:69]
	v_fmac_f64_e32 v[62:63], s[12:13], v[60:61]
	v_fmac_f64_e32 v[4:5], s[12:13], v[60:61]
	v_fma_f64 v[60:61], s[14:15], v[66:67], v[56:57]
	v_add_f64 v[68:69], v[68:69], -v[78:79]
	v_add_f64 v[64:65], v[46:47], -v[70:71]
	;; [unrolled: 1-line block ×3, first 2 shown]
	v_fmac_f64_e32 v[56:57], s[10:11], v[66:67]
	v_fmac_f64_e32 v[60:61], s[16:17], v[68:69]
	v_add_f64 v[64:65], v[64:65], v[76:77]
	v_fmac_f64_e32 v[56:57], s[2:3], v[68:69]
	v_fmac_f64_e32 v[60:61], s[12:13], v[64:65]
	;; [unrolled: 1-line block ×3, first 2 shown]
	v_add_f64 v[64:65], v[46:47], v[74:75]
	v_add_f64 v[52:53], v[6:7], v[46:47]
	v_fmac_f64_e32 v[6:7], -0.5, v[64:65]
	v_add_f64 v[52:53], v[52:53], v[70:71]
	v_fma_f64 v[64:65], s[10:11], v[68:69], v[6:7]
	v_add_f64 v[46:47], v[70:71], -v[46:47]
	v_add_f64 v[70:71], v[72:73], -v[74:75]
	v_fmac_f64_e32 v[6:7], s[14:15], v[68:69]
	v_fmac_f64_e32 v[64:65], s[16:17], v[66:67]
	v_add_f64 v[46:47], v[46:47], v[70:71]
	v_fmac_f64_e32 v[6:7], s[2:3], v[66:67]
	v_fmac_f64_e32 v[64:65], s[12:13], v[46:47]
	;; [unrolled: 1-line block ×3, first 2 shown]
	v_add_f64 v[46:47], v[0:1], v[38:39]
	v_add_f64 v[46:47], v[46:47], v[40:41]
	;; [unrolled: 1-line block ×6, first 2 shown]
	v_fma_f64 v[70:71], -0.5, v[46:47], v[0:1]
	v_add_f64 v[46:47], v[30:31], -v[36:37]
	v_add_f64 v[52:53], v[52:53], v[74:75]
	v_fma_f64 v[74:75], s[10:11], v[46:47], v[70:71]
	v_add_f64 v[68:69], v[32:33], -v[34:35]
	v_add_f64 v[72:73], v[38:39], -v[40:41]
	;; [unrolled: 1-line block ×3, first 2 shown]
	v_fmac_f64_e32 v[70:71], s[14:15], v[46:47]
	v_fmac_f64_e32 v[74:75], s[2:3], v[68:69]
	v_add_f64 v[72:73], v[72:73], v[76:77]
	v_fmac_f64_e32 v[70:71], s[16:17], v[68:69]
	v_fmac_f64_e32 v[74:75], s[12:13], v[72:73]
	;; [unrolled: 1-line block ×3, first 2 shown]
	v_add_f64 v[72:73], v[38:39], v[44:45]
	v_fmac_f64_e32 v[0:1], -0.5, v[72:73]
	v_add_f64 v[50:51], v[50:51], v[78:79]
	v_fma_f64 v[78:79], s[14:15], v[68:69], v[0:1]
	v_fmac_f64_e32 v[0:1], s[10:11], v[68:69]
	v_fmac_f64_e32 v[78:79], s[2:3], v[46:47]
	;; [unrolled: 1-line block ×3, first 2 shown]
	v_add_f64 v[46:47], v[2:3], v[30:31]
	v_add_f64 v[46:47], v[46:47], v[32:33]
	v_add_f64 v[72:73], v[40:41], -v[38:39]
	v_add_f64 v[76:77], v[42:43], -v[44:45]
	v_add_f64 v[46:47], v[46:47], v[34:35]
	v_add_f64 v[72:73], v[72:73], v[76:77]
	;; [unrolled: 1-line block ×4, first 2 shown]
	v_fmac_f64_e32 v[78:79], s[12:13], v[72:73]
	v_fmac_f64_e32 v[0:1], s[12:13], v[72:73]
	v_fma_f64 v[72:73], -0.5, v[46:47], v[2:3]
	v_add_f64 v[38:39], v[38:39], -v[44:45]
	v_fma_f64 v[76:77], s[14:15], v[38:39], v[72:73]
	v_add_f64 v[40:41], v[40:41], -v[42:43]
	v_add_f64 v[42:43], v[30:31], -v[32:33]
	;; [unrolled: 1-line block ×3, first 2 shown]
	v_fmac_f64_e32 v[72:73], s[10:11], v[38:39]
	v_fmac_f64_e32 v[76:77], s[16:17], v[40:41]
	v_add_f64 v[42:43], v[42:43], v[44:45]
	v_fmac_f64_e32 v[72:73], s[2:3], v[40:41]
	v_fmac_f64_e32 v[76:77], s[12:13], v[42:43]
	;; [unrolled: 1-line block ×3, first 2 shown]
	v_add_f64 v[42:43], v[30:31], v[36:37]
	v_fmac_f64_e32 v[2:3], -0.5, v[42:43]
	v_add_f64 v[50:51], v[50:51], v[80:81]
	v_fma_f64 v[80:81], s[10:11], v[40:41], v[2:3]
	v_add_f64 v[30:31], v[32:33], -v[30:31]
	v_add_f64 v[32:33], v[34:35], -v[36:37]
	v_fmac_f64_e32 v[2:3], s[14:15], v[40:41]
	v_add_f64 v[30:31], v[30:31], v[32:33]
	v_fmac_f64_e32 v[2:3], s[2:3], v[38:39]
	v_fmac_f64_e32 v[80:81], s[16:17], v[38:39]
	;; [unrolled: 1-line block ×4, first 2 shown]
	ds_write_b128 v102, v[16:19]
	ds_write_b128 v102, v[20:23] offset:6048
	ds_write_b128 v102, v[24:27] offset:12096
	ds_write_b128 v102, v[8:11] offset:18144
	ds_write_b128 v102, v[12:15] offset:24192
	ds_write_b128 v49, v[50:53]
	ds_write_b128 v49, v[58:61] offset:6048
	ds_write_b128 v49, v[62:65] offset:12096
	ds_write_b128 v49, v[4:7] offset:18144
	ds_write_b128 v49, v[54:57] offset:24192
	;; [unrolled: 5-line block ×3, first 2 shown]
	s_waitcnt lgkmcnt(0)
	s_barrier
	ds_read_b128 v[0:3], v102
	v_sub_u32_e32 v10, 0, v87
	v_cmp_ne_u32_e64 s[2:3], 0, v86
                                        ; implicit-def: $vgpr6_vgpr7
                                        ; implicit-def: $vgpr8_vgpr9
	s_and_saveexec_b64 s[10:11], s[2:3]
	s_xor_b64 s[2:3], exec, s[10:11]
	s_cbranch_execz .LBB0_21
; %bb.20:
	v_mov_b32_e32 v87, v29
	v_lshl_add_u64 v[4:5], v[86:87], 4, s[8:9]
	global_load_dwordx4 v[6:9], v[4:5], off
	ds_read_b128 v[12:15], v10 offset:30240
	s_waitcnt lgkmcnt(0)
	v_add_f64 v[4:5], v[0:1], v[12:13]
	v_add_f64 v[0:1], v[0:1], -v[12:13]
	v_mul_f64 v[0:1], v[0:1], 0.5
	v_add_f64 v[16:17], v[2:3], v[14:15]
	v_add_f64 v[2:3], v[2:3], -v[14:15]
	v_mul_f64 v[12:13], v[16:17], 0.5
	v_mul_f64 v[2:3], v[2:3], 0.5
	s_waitcnt vmcnt(0)
	v_mul_f64 v[14:15], v[0:1], v[8:9]
	v_fma_f64 v[18:19], 0.5, v[4:5], v[14:15]
	v_fma_f64 v[16:17], v[12:13], v[8:9], v[2:3]
	v_fma_f64 v[2:3], v[12:13], v[8:9], -v[2:3]
	v_fma_f64 v[4:5], v[4:5], 0.5, -v[14:15]
	v_fmac_f64_e32 v[18:19], v[12:13], v[6:7]
	v_fma_f64 v[8:9], -v[6:7], v[0:1], v[16:17]
	v_fma_f64 v[4:5], -v[12:13], v[6:7], v[4:5]
	ds_write_b64 v102, v[18:19]
	v_fma_f64 v[6:7], -v[6:7], v[0:1], v[2:3]
                                        ; implicit-def: $vgpr0_vgpr1
.LBB0_21:
	s_or_saveexec_b64 s[2:3], s[2:3]
	v_sub_u32_e32 v11, 0, v91
	v_sub_u32_e32 v12, 0, v95
	s_xor_b64 exec, exec, s[2:3]
	s_cbranch_execz .LBB0_23
; %bb.22:
	v_mov_b32_e32 v13, 0
	ds_read_b64 v[6:7], v13 offset:15128
	v_mov_b64_e32 v[8:9], 0
	s_waitcnt lgkmcnt(1)
	v_add_f64 v[14:15], v[0:1], v[2:3]
	v_add_f64 v[4:5], v[0:1], -v[2:3]
	ds_write_b64 v102, v[14:15]
	s_waitcnt lgkmcnt(1)
	v_xor_b32_e32 v7, 0x80000000, v7
	ds_write_b64 v13, v[6:7] offset:15128
	v_mov_b64_e32 v[6:7], v[8:9]
.LBB0_23:
	s_or_b64 exec, exec, s[2:3]
	v_mov_b32_e32 v91, 0
	s_waitcnt lgkmcnt(0)
	v_lshl_add_u64 v[0:1], v[90:91], 4, s[8:9]
	global_load_dwordx4 v[14:17], v[0:1], off
	v_mov_b32_e32 v101, v91
	v_lshl_add_u64 v[0:1], v[100:101], 4, s[8:9]
	global_load_dwordx4 v[18:21], v[0:1], off
	v_mov_b32_e32 v97, v91
	;; [unrolled: 3-line block ×3, first 2 shown]
	ds_write_b64 v102, v[8:9] offset:8
	ds_write_b128 v10, v[4:7] offset:30240
	v_lshl_add_u64 v[8:9], v[98:99], 4, s[8:9]
	ds_read_b128 v[4:7], v49
	ds_read_b128 v[22:25], v10 offset:28224
	global_load_dwordx4 v[30:33], v[8:9], off
	v_mov_b32_e32 v95, v91
	v_add_u32_e32 v29, v93, v12
	v_mov_b32_e32 v93, v91
	s_waitcnt lgkmcnt(0)
	v_add_f64 v[8:9], v[4:5], v[22:23]
	v_add_f64 v[4:5], v[4:5], -v[22:23]
	v_add_f64 v[26:27], v[6:7], v[24:25]
	v_add_f64 v[6:7], v[6:7], -v[24:25]
	v_mul_f64 v[24:25], v[4:5], 0.5
	v_mul_f64 v[22:23], v[26:27], 0.5
	;; [unrolled: 1-line block ×3, first 2 shown]
	v_add_u32_e32 v11, v103, v11
	s_waitcnt vmcnt(3)
	v_mul_f64 v[26:27], v[24:25], v[16:17]
	v_fma_f64 v[6:7], v[22:23], v[16:17], v[4:5]
	v_fma_f64 v[16:17], v[22:23], v[16:17], -v[4:5]
	v_fma_f64 v[4:5], 0.5, v[8:9], v[26:27]
	v_fma_f64 v[6:7], -v[14:15], v[24:25], v[6:7]
	v_fma_f64 v[8:9], v[8:9], 0.5, -v[26:27]
	v_fmac_f64_e32 v[4:5], v[22:23], v[14:15]
	v_fma_f64 v[16:17], -v[14:15], v[24:25], v[16:17]
	v_fma_f64 v[14:15], -v[22:23], v[14:15], v[8:9]
	ds_write_b128 v49, v[4:7]
	ds_write_b128 v10, v[14:17] offset:28224
	v_lshl_add_u64 v[8:9], v[94:95], 4, s[8:9]
	ds_read_b128 v[4:7], v104
	ds_read_b128 v[14:17], v10 offset:26208
	global_load_dwordx4 v[22:25], v[8:9], off
	s_waitcnt lgkmcnt(0)
	v_add_f64 v[8:9], v[4:5], v[14:15]
	v_add_f64 v[4:5], v[4:5], -v[14:15]
	v_add_f64 v[26:27], v[6:7], v[16:17]
	v_add_f64 v[6:7], v[6:7], -v[16:17]
	v_mul_f64 v[16:17], v[4:5], 0.5
	v_mul_f64 v[14:15], v[26:27], 0.5
	;; [unrolled: 1-line block ×3, first 2 shown]
	s_waitcnt vmcnt(3)
	v_mul_f64 v[26:27], v[16:17], v[20:21]
	v_fma_f64 v[6:7], v[14:15], v[20:21], v[4:5]
	v_fma_f64 v[20:21], v[14:15], v[20:21], -v[4:5]
	v_fma_f64 v[4:5], 0.5, v[8:9], v[26:27]
	v_fma_f64 v[6:7], -v[18:19], v[16:17], v[6:7]
	v_fma_f64 v[8:9], v[8:9], 0.5, -v[26:27]
	v_fmac_f64_e32 v[4:5], v[14:15], v[18:19]
	v_fma_f64 v[16:17], -v[18:19], v[16:17], v[20:21]
	v_fma_f64 v[14:15], -v[14:15], v[18:19], v[8:9]
	ds_write_b128 v104, v[4:7]
	ds_write_b128 v10, v[14:17] offset:26208
	v_lshl_add_u64 v[8:9], v[92:93], 4, s[8:9]
	ds_read_b128 v[4:7], v48
	ds_read_b128 v[14:17], v10 offset:24192
	global_load_dwordx4 v[18:21], v[8:9], off
	s_waitcnt lgkmcnt(0)
	v_add_f64 v[8:9], v[4:5], v[14:15]
	v_add_f64 v[4:5], v[4:5], -v[14:15]
	v_add_f64 v[12:13], v[6:7], v[16:17]
	v_add_f64 v[6:7], v[6:7], -v[16:17]
	v_mul_f64 v[14:15], v[4:5], 0.5
	v_mul_f64 v[12:13], v[12:13], 0.5
	v_mul_f64 v[4:5], v[6:7], 0.5
	s_waitcnt vmcnt(3)
	v_mul_f64 v[6:7], v[14:15], v[2:3]
	v_fma_f64 v[16:17], v[12:13], v[2:3], v[4:5]
	v_fma_f64 v[26:27], v[12:13], v[2:3], -v[4:5]
	v_fma_f64 v[2:3], 0.5, v[8:9], v[6:7]
	v_fma_f64 v[4:5], -v[0:1], v[14:15], v[16:17]
	v_fma_f64 v[6:7], v[8:9], 0.5, -v[6:7]
	v_fmac_f64_e32 v[2:3], v[12:13], v[0:1]
	v_fma_f64 v[8:9], -v[0:1], v[14:15], v[26:27]
	v_fma_f64 v[6:7], -v[12:13], v[0:1], v[6:7]
	ds_write_b128 v48, v[2:5]
	ds_write_b128 v10, v[6:9] offset:24192
	ds_read_b128 v[0:3], v29
	ds_read_b128 v[4:7], v10 offset:22176
	s_waitcnt lgkmcnt(0)
	v_add_f64 v[8:9], v[0:1], v[4:5]
	v_add_f64 v[0:1], v[0:1], -v[4:5]
	v_add_f64 v[12:13], v[2:3], v[6:7]
	v_add_f64 v[2:3], v[2:3], -v[6:7]
	v_mul_f64 v[6:7], v[0:1], 0.5
	v_mul_f64 v[4:5], v[12:13], 0.5
	v_mul_f64 v[0:1], v[2:3], 0.5
	s_waitcnt vmcnt(2)
	v_mul_f64 v[12:13], v[6:7], v[32:33]
	v_fma_f64 v[2:3], v[4:5], v[32:33], v[0:1]
	v_fma_f64 v[14:15], v[4:5], v[32:33], -v[0:1]
	v_fma_f64 v[0:1], 0.5, v[8:9], v[12:13]
	v_fma_f64 v[2:3], -v[30:31], v[6:7], v[2:3]
	v_fma_f64 v[8:9], v[8:9], 0.5, -v[12:13]
	v_fmac_f64_e32 v[0:1], v[4:5], v[30:31]
	v_fma_f64 v[6:7], -v[30:31], v[6:7], v[14:15]
	v_fma_f64 v[4:5], -v[4:5], v[30:31], v[8:9]
	ds_write_b128 v29, v[0:3]
	ds_write_b128 v10, v[4:7] offset:22176
	ds_read_b128 v[0:3], v11
	ds_read_b128 v[4:7], v10 offset:20160
	;; [unrolled: 22-line block ×3, first 2 shown]
	s_waitcnt lgkmcnt(0)
	v_add_f64 v[8:9], v[0:1], v[4:5]
	v_add_f64 v[0:1], v[0:1], -v[4:5]
	v_add_f64 v[12:13], v[2:3], v[6:7]
	v_add_f64 v[2:3], v[2:3], -v[6:7]
	v_mul_f64 v[6:7], v[0:1], 0.5
	v_mul_f64 v[4:5], v[12:13], 0.5
	;; [unrolled: 1-line block ×3, first 2 shown]
	s_waitcnt vmcnt(0)
	v_mul_f64 v[12:13], v[6:7], v[20:21]
	v_fma_f64 v[2:3], v[4:5], v[20:21], v[0:1]
	v_fma_f64 v[14:15], v[4:5], v[20:21], -v[0:1]
	v_fma_f64 v[0:1], 0.5, v[8:9], v[12:13]
	v_fma_f64 v[2:3], -v[18:19], v[6:7], v[2:3]
	v_fma_f64 v[8:9], v[8:9], 0.5, -v[12:13]
	v_fmac_f64_e32 v[0:1], v[4:5], v[18:19]
	v_fma_f64 v[6:7], -v[18:19], v[6:7], v[14:15]
	v_fma_f64 v[4:5], -v[4:5], v[18:19], v[8:9]
	ds_write_b128 v28, v[0:3]
	ds_write_b128 v10, v[4:7] offset:18144
	s_and_saveexec_b64 s[2:3], vcc
	s_cbranch_execz .LBB0_25
; %bb.24:
	v_add_u32_e32 v90, 0x372, v86
	v_lshl_add_u64 v[0:1], v[90:91], 4, s[8:9]
	global_load_dwordx4 v[0:3], v[0:1], off
	ds_read_b128 v[4:7], v102 offset:14112
	ds_read_b128 v[12:15], v10 offset:16128
	s_waitcnt lgkmcnt(0)
	v_add_f64 v[8:9], v[4:5], v[12:13]
	v_add_f64 v[4:5], v[4:5], -v[12:13]
	v_add_f64 v[16:17], v[6:7], v[14:15]
	v_add_f64 v[6:7], v[6:7], -v[14:15]
	v_mul_f64 v[14:15], v[4:5], 0.5
	v_mul_f64 v[12:13], v[16:17], 0.5
	;; [unrolled: 1-line block ×3, first 2 shown]
	s_waitcnt vmcnt(0)
	v_mul_f64 v[6:7], v[14:15], v[2:3]
	v_fma_f64 v[16:17], v[12:13], v[2:3], v[4:5]
	v_fma_f64 v[18:19], v[12:13], v[2:3], -v[4:5]
	v_fma_f64 v[2:3], 0.5, v[8:9], v[6:7]
	v_fma_f64 v[4:5], -v[0:1], v[14:15], v[16:17]
	v_fma_f64 v[6:7], v[8:9], 0.5, -v[6:7]
	v_fmac_f64_e32 v[2:3], v[12:13], v[0:1]
	v_fma_f64 v[8:9], -v[0:1], v[14:15], v[18:19]
	v_fma_f64 v[6:7], -v[12:13], v[0:1], v[6:7]
	ds_write_b128 v102, v[2:5] offset:14112
	ds_write_b128 v10, v[6:9] offset:16128
.LBB0_25:
	s_or_b64 exec, exec, s[2:3]
	s_waitcnt lgkmcnt(0)
	s_barrier
	s_and_saveexec_b64 s[2:3], s[0:1]
	s_cbranch_execz .LBB0_28
; %bb.26:
	v_mul_lo_u32 v2, s5, v88
	v_mul_lo_u32 v3, s4, v89
	v_mad_u64_u32 v[0:1], s[0:1], s4, v88, 0
	v_lshl_add_u32 v12, v86, 4, 0
	v_add3_u32 v1, v1, v3, v2
	ds_read_b128 v[2:5], v12
	ds_read_b128 v[6:9], v12 offset:2016
	v_lshl_add_u64 v[0:1], v[0:1], 4, s[6:7]
	v_mov_b32_e32 v87, 0
	v_lshl_add_u64 v[0:1], v[84:85], 4, v[0:1]
	v_lshl_add_u64 v[10:11], v[86:87], 4, v[0:1]
	s_waitcnt lgkmcnt(1)
	global_store_dwordx4 v[10:11], v[2:5], off
	s_movk_i32 s0, 0x7d
	v_cmp_eq_u32_e32 vcc, s0, v86
	v_add_u32_e32 v2, 0x7e, v86
	v_mov_b32_e32 v3, v87
	v_lshl_add_u64 v[2:3], v[2:3], 4, v[0:1]
	s_waitcnt lgkmcnt(0)
	global_store_dwordx4 v[2:3], v[6:9], off
	ds_read_b128 v[2:5], v12 offset:4032
	s_nop 0
	v_add_u32_e32 v6, 0xfc, v86
	v_mov_b32_e32 v7, v87
	v_lshl_add_u64 v[10:11], v[6:7], 4, v[0:1]
	ds_read_b128 v[6:9], v12 offset:6048
	s_waitcnt lgkmcnt(1)
	global_store_dwordx4 v[10:11], v[2:5], off
	s_nop 1
	v_add_u32_e32 v2, 0x17a, v86
	v_mov_b32_e32 v3, v87
	v_lshl_add_u64 v[2:3], v[2:3], 4, v[0:1]
	s_waitcnt lgkmcnt(0)
	global_store_dwordx4 v[2:3], v[6:9], off
	ds_read_b128 v[2:5], v12 offset:8064
	s_nop 0
	v_add_u32_e32 v6, 0x1f8, v86
	v_mov_b32_e32 v7, v87
	v_lshl_add_u64 v[10:11], v[6:7], 4, v[0:1]
	ds_read_b128 v[6:9], v12 offset:10080
	s_waitcnt lgkmcnt(1)
	global_store_dwordx4 v[10:11], v[2:5], off
	s_nop 1
	;; [unrolled: 14-line block ×6, first 2 shown]
	v_add_u32_e32 v2, 0x666, v86
	v_mov_b32_e32 v3, v87
	v_lshl_add_u64 v[10:11], v[2:3], 4, v[0:1]
	ds_read_b128 v[2:5], v12 offset:28224
	s_waitcnt lgkmcnt(1)
	global_store_dwordx4 v[10:11], v[6:9], off
	s_nop 1
	v_add_u32_e32 v6, 0x6e4, v86
	v_mov_b32_e32 v7, v87
	v_lshl_add_u64 v[6:7], v[6:7], 4, v[0:1]
	s_waitcnt lgkmcnt(0)
	global_store_dwordx4 v[6:7], v[2:5], off
	s_and_b64 exec, exec, vcc
	s_cbranch_execz .LBB0_28
; %bb.27:
	ds_read_b128 v[2:5], v87 offset:30240
	v_add_co_u32_e32 v0, vcc, 0x7000, v0
	s_nop 1
	v_addc_co_u32_e32 v1, vcc, 0, v1, vcc
	s_waitcnt lgkmcnt(0)
	global_store_dwordx4 v[0:1], v[2:5], off offset:1568
.LBB0_28:
	s_endpgm
	.section	.rodata,"a",@progbits
	.p2align	6, 0x0
	.amdhsa_kernel fft_rtc_fwd_len1890_factors_2_3_3_3_7_5_wgs_126_tpt_126_halfLds_dp_op_CI_CI_unitstride_sbrr_R2C_dirReg
		.amdhsa_group_segment_fixed_size 0
		.amdhsa_private_segment_fixed_size 0
		.amdhsa_kernarg_size 104
		.amdhsa_user_sgpr_count 2
		.amdhsa_user_sgpr_dispatch_ptr 0
		.amdhsa_user_sgpr_queue_ptr 0
		.amdhsa_user_sgpr_kernarg_segment_ptr 1
		.amdhsa_user_sgpr_dispatch_id 0
		.amdhsa_user_sgpr_kernarg_preload_length 0
		.amdhsa_user_sgpr_kernarg_preload_offset 0
		.amdhsa_user_sgpr_private_segment_size 0
		.amdhsa_uses_dynamic_stack 0
		.amdhsa_enable_private_segment 0
		.amdhsa_system_sgpr_workgroup_id_x 1
		.amdhsa_system_sgpr_workgroup_id_y 0
		.amdhsa_system_sgpr_workgroup_id_z 0
		.amdhsa_system_sgpr_workgroup_info 0
		.amdhsa_system_vgpr_workitem_id 0
		.amdhsa_next_free_vgpr 164
		.amdhsa_next_free_sgpr 32
		.amdhsa_accum_offset 164
		.amdhsa_reserve_vcc 1
		.amdhsa_float_round_mode_32 0
		.amdhsa_float_round_mode_16_64 0
		.amdhsa_float_denorm_mode_32 3
		.amdhsa_float_denorm_mode_16_64 3
		.amdhsa_dx10_clamp 1
		.amdhsa_ieee_mode 1
		.amdhsa_fp16_overflow 0
		.amdhsa_tg_split 0
		.amdhsa_exception_fp_ieee_invalid_op 0
		.amdhsa_exception_fp_denorm_src 0
		.amdhsa_exception_fp_ieee_div_zero 0
		.amdhsa_exception_fp_ieee_overflow 0
		.amdhsa_exception_fp_ieee_underflow 0
		.amdhsa_exception_fp_ieee_inexact 0
		.amdhsa_exception_int_div_zero 0
	.end_amdhsa_kernel
	.text
.Lfunc_end0:
	.size	fft_rtc_fwd_len1890_factors_2_3_3_3_7_5_wgs_126_tpt_126_halfLds_dp_op_CI_CI_unitstride_sbrr_R2C_dirReg, .Lfunc_end0-fft_rtc_fwd_len1890_factors_2_3_3_3_7_5_wgs_126_tpt_126_halfLds_dp_op_CI_CI_unitstride_sbrr_R2C_dirReg
                                        ; -- End function
	.section	.AMDGPU.csdata,"",@progbits
; Kernel info:
; codeLenInByte = 14220
; NumSgprs: 38
; NumVgprs: 164
; NumAgprs: 0
; TotalNumVgprs: 164
; ScratchSize: 0
; MemoryBound: 0
; FloatMode: 240
; IeeeMode: 1
; LDSByteSize: 0 bytes/workgroup (compile time only)
; SGPRBlocks: 4
; VGPRBlocks: 20
; NumSGPRsForWavesPerEU: 38
; NumVGPRsForWavesPerEU: 164
; AccumOffset: 164
; Occupancy: 3
; WaveLimiterHint : 1
; COMPUTE_PGM_RSRC2:SCRATCH_EN: 0
; COMPUTE_PGM_RSRC2:USER_SGPR: 2
; COMPUTE_PGM_RSRC2:TRAP_HANDLER: 0
; COMPUTE_PGM_RSRC2:TGID_X_EN: 1
; COMPUTE_PGM_RSRC2:TGID_Y_EN: 0
; COMPUTE_PGM_RSRC2:TGID_Z_EN: 0
; COMPUTE_PGM_RSRC2:TIDIG_COMP_CNT: 0
; COMPUTE_PGM_RSRC3_GFX90A:ACCUM_OFFSET: 40
; COMPUTE_PGM_RSRC3_GFX90A:TG_SPLIT: 0
	.text
	.p2alignl 6, 3212836864
	.fill 256, 4, 3212836864
	.type	__hip_cuid_e0d526f80b2dad03,@object ; @__hip_cuid_e0d526f80b2dad03
	.section	.bss,"aw",@nobits
	.globl	__hip_cuid_e0d526f80b2dad03
__hip_cuid_e0d526f80b2dad03:
	.byte	0                               ; 0x0
	.size	__hip_cuid_e0d526f80b2dad03, 1

	.ident	"AMD clang version 19.0.0git (https://github.com/RadeonOpenCompute/llvm-project roc-6.4.0 25133 c7fe45cf4b819c5991fe208aaa96edf142730f1d)"
	.section	".note.GNU-stack","",@progbits
	.addrsig
	.addrsig_sym __hip_cuid_e0d526f80b2dad03
	.amdgpu_metadata
---
amdhsa.kernels:
  - .agpr_count:     0
    .args:
      - .actual_access:  read_only
        .address_space:  global
        .offset:         0
        .size:           8
        .value_kind:     global_buffer
      - .offset:         8
        .size:           8
        .value_kind:     by_value
      - .actual_access:  read_only
        .address_space:  global
        .offset:         16
        .size:           8
        .value_kind:     global_buffer
      - .actual_access:  read_only
        .address_space:  global
        .offset:         24
        .size:           8
        .value_kind:     global_buffer
      - .actual_access:  read_only
        .address_space:  global
        .offset:         32
        .size:           8
        .value_kind:     global_buffer
      - .offset:         40
        .size:           8
        .value_kind:     by_value
      - .actual_access:  read_only
        .address_space:  global
        .offset:         48
        .size:           8
        .value_kind:     global_buffer
      - .actual_access:  read_only
        .address_space:  global
        .offset:         56
        .size:           8
        .value_kind:     global_buffer
      - .offset:         64
        .size:           4
        .value_kind:     by_value
      - .actual_access:  read_only
        .address_space:  global
        .offset:         72
        .size:           8
        .value_kind:     global_buffer
      - .actual_access:  read_only
        .address_space:  global
        .offset:         80
        .size:           8
        .value_kind:     global_buffer
      - .actual_access:  read_only
        .address_space:  global
        .offset:         88
        .size:           8
        .value_kind:     global_buffer
      - .actual_access:  write_only
        .address_space:  global
        .offset:         96
        .size:           8
        .value_kind:     global_buffer
    .group_segment_fixed_size: 0
    .kernarg_segment_align: 8
    .kernarg_segment_size: 104
    .language:       OpenCL C
    .language_version:
      - 2
      - 0
    .max_flat_workgroup_size: 126
    .name:           fft_rtc_fwd_len1890_factors_2_3_3_3_7_5_wgs_126_tpt_126_halfLds_dp_op_CI_CI_unitstride_sbrr_R2C_dirReg
    .private_segment_fixed_size: 0
    .sgpr_count:     38
    .sgpr_spill_count: 0
    .symbol:         fft_rtc_fwd_len1890_factors_2_3_3_3_7_5_wgs_126_tpt_126_halfLds_dp_op_CI_CI_unitstride_sbrr_R2C_dirReg.kd
    .uniform_work_group_size: 1
    .uses_dynamic_stack: false
    .vgpr_count:     164
    .vgpr_spill_count: 0
    .wavefront_size: 64
amdhsa.target:   amdgcn-amd-amdhsa--gfx950
amdhsa.version:
  - 1
  - 2
...

	.end_amdgpu_metadata
